;; amdgpu-corpus repo=ROCm/rocFFT kind=compiled arch=gfx906 opt=O3
	.text
	.amdgcn_target "amdgcn-amd-amdhsa--gfx906"
	.amdhsa_code_object_version 6
	.protected	bluestein_single_fwd_len2430_dim1_half_op_CI_CI ; -- Begin function bluestein_single_fwd_len2430_dim1_half_op_CI_CI
	.globl	bluestein_single_fwd_len2430_dim1_half_op_CI_CI
	.p2align	8
	.type	bluestein_single_fwd_len2430_dim1_half_op_CI_CI,@function
bluestein_single_fwd_len2430_dim1_half_op_CI_CI: ; @bluestein_single_fwd_len2430_dim1_half_op_CI_CI
; %bb.0:
	s_load_dwordx4 s[16:19], s[4:5], 0x28
	v_mul_u32_u24_e32 v3, 0x32a, v0
	v_add_u32_sdwa v1, s6, v3 dst_sel:DWORD dst_unused:UNUSED_PAD src0_sel:DWORD src1_sel:WORD_1
	v_mov_b32_e32 v2, 0
	s_waitcnt lgkmcnt(0)
	v_cmp_gt_u64_e32 vcc, s[16:17], v[1:2]
	s_movk_i32 s16, 0x32a
	s_and_saveexec_b64 s[0:1], vcc
	s_cbranch_execz .LBB0_2
; %bb.1:
	s_load_dwordx4 s[8:11], s[4:5], 0x18
	s_load_dwordx4 s[0:3], s[4:5], 0x0
	s_movk_i32 s17, 0x51
	v_mul_lo_u16_sdwa v2, v3, s17 dst_sel:DWORD dst_unused:UNUSED_PAD src0_sel:WORD_1 src1_sel:DWORD
	v_sub_u16_e32 v142, v0, v2
	s_waitcnt lgkmcnt(0)
	s_load_dwordx4 s[12:15], s[8:9], 0x0
	v_mov_b32_e32 v116, 0xffffdf18
	s_movk_i32 s20, 0x144
	s_movk_i32 s22, 0x195
	;; [unrolled: 1-line block ×3, first 2 shown]
	s_waitcnt lgkmcnt(0)
	v_mad_u64_u32 v[2:3], s[6:7], s14, v1, 0
	v_mad_u64_u32 v[4:5], s[6:7], s12, v142, 0
	v_mov_b32_e32 v0, v3
	s_movk_i32 s14, 0x1000
	v_mov_b32_e32 v3, v5
	v_mad_u64_u32 v[5:6], s[6:7], s15, v1, v[0:1]
	v_mad_u64_u32 v[6:7], s[6:7], s13, v142, v[3:4]
	v_mov_b32_e32 v3, v5
	v_lshlrev_b64 v[2:3], 2, v[2:3]
	v_mov_b32_e32 v0, s19
	v_mov_b32_e32 v5, v6
	v_add_co_u32_e32 v6, vcc, s18, v2
	v_addc_co_u32_e32 v0, vcc, v0, v3, vcc
	v_lshlrev_b64 v[2:3], 2, v[4:5]
	s_mul_i32 s6, s13, 0x3cc
	v_add_co_u32_e32 v2, vcc, v6, v2
	s_mul_hi_u32 s7, s12, 0x3cc
	v_addc_co_u32_e32 v3, vcc, v0, v3, vcc
	s_add_i32 s6, s7, s6
	s_mul_i32 s7, s12, 0x3cc
	global_load_dword v6, v[2:3], off
	v_lshlrev_b32_e32 v0, 2, v142
	v_mov_b32_e32 v4, s6
	v_add_co_u32_e32 v2, vcc, s7, v2
	global_load_dword v144, v0, s[0:1]
	v_addc_co_u32_e32 v3, vcc, v3, v4, vcc
	global_load_dword v7, v[2:3], off
	global_load_dword v141, v0, s[0:1] offset:972
	v_add_co_u32_e32 v2, vcc, s7, v2
	v_addc_co_u32_e32 v3, vcc, v3, v4, vcc
	global_load_dword v8, v[2:3], off
	global_load_dword v139, v0, s[0:1] offset:1944
	v_add_co_u32_e32 v2, vcc, s7, v2
	;; [unrolled: 4-line block ×4, first 2 shown]
	v_addc_co_u32_e32 v3, vcc, v3, v4, vcc
	v_mov_b32_e32 v4, s1
	v_add_co_u32_e32 v104, vcc, s0, v0
	v_addc_co_u32_e32 v105, vcc, 0, v4, vcc
	v_add_co_u32_e32 v4, vcc, s14, v104
	global_load_dword v11, v[2:3], off
	v_addc_co_u32_e32 v5, vcc, 0, v105, vcc
	s_load_dwordx4 s[8:11], s[10:11], 0x0
	global_load_dword v128, v0, s[0:1] offset:324
	global_load_dword v127, v0, s[0:1] offset:1296
	;; [unrolled: 1-line block ×5, first 2 shown]
	global_load_dword v138, v[4:5], off offset:764
	v_mov_b32_e32 v12, s6
	v_add_co_u32_e32 v2, vcc, s7, v2
	v_addc_co_u32_e32 v3, vcc, v3, v12, vcc
	v_mov_b32_e32 v18, s6
	v_mov_b32_e32 v19, s6
	;; [unrolled: 1-line block ×7, first 2 shown]
	v_add_u32_e32 v133, 0x400, v0
	v_add_u32_e32 v149, 0x800, v0
	;; [unrolled: 1-line block ×13, first 2 shown]
	s_mov_b32 s14, 0xb8b4
	v_add_u32_e32 v140, 0x2000, v0
	s_movk_i32 s15, 0x3a79
	s_movk_i32 s18, 0x1e6
	;; [unrolled: 1-line block ×4, first 2 shown]
	s_load_dwordx2 s[4:5], s[4:5], 0x38
	s_waitcnt vmcnt(16)
	v_lshrrev_b32_e32 v13, 16, v6
	s_waitcnt vmcnt(15)
	v_mul_f16_sdwa v14, v144, v6 dst_sel:DWORD dst_unused:UNUSED_PAD src0_sel:WORD_1 src1_sel:DWORD
	v_mul_f16_sdwa v15, v144, v13 dst_sel:DWORD dst_unused:UNUSED_PAD src0_sel:WORD_1 src1_sel:DWORD
	v_fma_f16 v13, v144, v13, -v14
	s_waitcnt vmcnt(14)
	v_lshrrev_b32_e32 v14, 16, v7
	s_waitcnt vmcnt(13)
	v_mul_f16_sdwa v16, v141, v7 dst_sel:DWORD dst_unused:UNUSED_PAD src0_sel:WORD_1 src1_sel:DWORD
	v_fma_f16 v6, v144, v6, v15
	v_mul_f16_sdwa v15, v141, v14 dst_sel:DWORD dst_unused:UNUSED_PAD src0_sel:WORD_1 src1_sel:DWORD
	v_fma_f16 v14, v141, v14, -v16
	s_waitcnt vmcnt(12)
	v_lshrrev_b32_e32 v16, 16, v8
	s_waitcnt vmcnt(11)
	v_mul_f16_sdwa v17, v139, v8 dst_sel:DWORD dst_unused:UNUSED_PAD src0_sel:WORD_1 src1_sel:DWORD
	v_pack_b32_f16 v6, v6, v13
	v_fma_f16 v7, v141, v7, v15
	v_mul_f16_sdwa v13, v139, v16 dst_sel:DWORD dst_unused:UNUSED_PAD src0_sel:WORD_1 src1_sel:DWORD
	v_fma_f16 v15, v139, v16, -v17
	s_waitcnt vmcnt(10)
	v_lshrrev_b32_e32 v16, 16, v9
	v_pack_b32_f16 v7, v7, v14
	v_fma_f16 v8, v139, v8, v13
	ds_write_b32 v0, v7 offset:972
	v_pack_b32_f16 v7, v8, v15
	s_waitcnt vmcnt(9)
	v_mul_f16_sdwa v8, v137, v16 dst_sel:DWORD dst_unused:UNUSED_PAD src0_sel:WORD_1 src1_sel:DWORD
	v_fma_f16 v8, v137, v9, v8
	v_mul_f16_sdwa v9, v137, v9 dst_sel:DWORD dst_unused:UNUSED_PAD src0_sel:WORD_1 src1_sel:DWORD
	v_fma_f16 v9, v137, v16, -v9
	ds_write_b32 v0, v7 offset:1944
	v_pack_b32_f16 v8, v8, v9
	global_load_dword v7, v[2:3], off
	global_load_dword v136, v[4:5], off offset:1736
	global_load_dword v125, v0, s[0:1] offset:3240
	global_load_dword v112, v0, s[0:1] offset:3564
	;; [unrolled: 1-line block ×3, first 2 shown]
	ds_write_b32 v0, v8 offset:2916
	s_waitcnt vmcnt(13)
	v_lshrrev_b32_e32 v8, 16, v10
	s_waitcnt vmcnt(12)
	v_mul_f16_sdwa v9, v134, v8 dst_sel:DWORD dst_unused:UNUSED_PAD src0_sel:WORD_1 src1_sel:DWORD
	v_fma_f16 v9, v134, v10, v9
	v_mul_f16_sdwa v10, v134, v10 dst_sel:DWORD dst_unused:UNUSED_PAD src0_sel:WORD_1 src1_sel:DWORD
	v_fma_f16 v8, v134, v8, -v10
	v_mov_b32_e32 v10, s6
	v_add_co_u32_e32 v2, vcc, s7, v2
	v_addc_co_u32_e32 v3, vcc, v3, v10, vcc
	global_load_dword v10, v[2:3], off
	global_load_dword v135, v[4:5], off offset:2708
	v_pack_b32_f16 v8, v9, v8
	v_mov_b32_e32 v9, s6
	v_add_co_u32_e32 v2, vcc, s7, v2
	ds_write_b32 v0, v8 offset:3888
	v_addc_co_u32_e32 v3, vcc, v3, v9, vcc
	global_load_dword v9, v[2:3], off
	global_load_dword v132, v[4:5], off offset:3680
	v_add_co_u32_e32 v2, vcc, s7, v2
	v_addc_co_u32_e32 v3, vcc, v3, v12, vcc
	s_movk_i32 s0, 0x2000
	v_add_co_u32_e32 v16, vcc, s0, v104
	global_load_dword v12, v[2:3], off
	v_addc_co_u32_e32 v17, vcc, 0, v105, vcc
	v_mad_u64_u32 v[2:3], s[0:1], s12, v116, v[2:3]
	global_load_dword v131, v[16:17], off offset:556
	s_waitcnt vmcnt(17)
	v_lshrrev_b32_e32 v8, 16, v11
	s_mul_i32 s0, s13, 0xffffdf18
	s_sub_i32 s0, s0, s12
	s_waitcnt vmcnt(11)
	v_mul_f16_sdwa v14, v138, v8 dst_sel:DWORD dst_unused:UNUSED_PAD src0_sel:WORD_1 src1_sel:DWORD
	v_add_u32_e32 v3, s0, v3
	v_fma_f16 v14, v138, v11, v14
	v_mul_f16_sdwa v11, v138, v11 dst_sel:DWORD dst_unused:UNUSED_PAD src0_sel:WORD_1 src1_sel:DWORD
	global_load_dword v13, v[2:3], off
	global_load_dword v124, v[4:5], off offset:116
	global_load_dword v122, v[4:5], off offset:1088
	;; [unrolled: 1-line block ×6, first 2 shown]
	v_fma_f16 v8, v138, v8, -v11
	v_mov_b32_e32 v11, s6
	v_add_co_u32_e32 v2, vcc, s7, v2
	v_addc_co_u32_e32 v3, vcc, v3, v11, vcc
	global_load_dword v11, v[2:3], off
	v_mov_b32_e32 v15, s6
	v_add_co_u32_e32 v2, vcc, s7, v2
	v_addc_co_u32_e32 v3, vcc, v3, v15, vcc
	global_load_dword v15, v[2:3], off
	v_add_co_u32_e32 v2, vcc, s7, v2
	v_addc_co_u32_e32 v3, vcc, v3, v18, vcc
	global_load_dword v18, v[2:3], off
	;; [unrolled: 3-line block ×4, first 2 shown]
	v_pack_b32_f16 v8, v14, v8
	ds_write_b32 v0, v8 offset:4860
	v_add_co_u32_e32 v2, vcc, s7, v2
	s_waitcnt vmcnt(22)
	v_lshrrev_b32_e32 v8, 16, v7
	s_waitcnt vmcnt(21)
	v_mul_f16_sdwa v14, v136, v8 dst_sel:DWORD dst_unused:UNUSED_PAD src0_sel:WORD_1 src1_sel:DWORD
	v_fma_f16 v14, v136, v7, v14
	v_mul_f16_sdwa v7, v136, v7 dst_sel:DWORD dst_unused:UNUSED_PAD src0_sel:WORD_1 src1_sel:DWORD
	v_fma_f16 v7, v136, v8, -v7
	v_pack_b32_f16 v7, v14, v7
	ds_write_b32 v0, v7 offset:5832
	global_load_dword v119, v[4:5], off offset:3032
	global_load_dword v118, v[4:5], off offset:4004
	;; [unrolled: 1-line block ×3, first 2 shown]
	s_waitcnt vmcnt(20)
	v_lshrrev_b32_e32 v7, 16, v10
	s_waitcnt vmcnt(19)
	v_mul_f16_sdwa v5, v135, v10 dst_sel:DWORD dst_unused:UNUSED_PAD src0_sel:WORD_1 src1_sel:DWORD
	v_mul_f16_sdwa v4, v135, v7 dst_sel:DWORD dst_unused:UNUSED_PAD src0_sel:WORD_1 src1_sel:DWORD
	v_fma_f16 v5, v135, v7, -v5
	v_mov_b32_e32 v7, s6
	v_addc_co_u32_e32 v3, vcc, v3, v7, vcc
	global_load_dword v7, v[2:3], off
	v_fma_f16 v4, v135, v10, v4
	v_pack_b32_f16 v4, v4, v5
	ds_write_b32 v0, v4 offset:6804
	s_waitcnt vmcnt(19)
	v_lshrrev_b32_e32 v4, 16, v9
	s_waitcnt vmcnt(18)
	v_mul_f16_sdwa v5, v132, v4 dst_sel:DWORD dst_unused:UNUSED_PAD src0_sel:WORD_1 src1_sel:DWORD
	v_mul_f16_sdwa v8, v132, v9 dst_sel:DWORD dst_unused:UNUSED_PAD src0_sel:WORD_1 src1_sel:DWORD
	v_fma_f16 v5, v132, v9, v5
	v_fma_f16 v4, v132, v4, -v8
	v_pack_b32_f16 v4, v5, v4
	v_mov_b32_e32 v9, s6
	v_add_co_u32_e32 v2, vcc, s7, v2
	ds_write_b32 v0, v4 offset:7776
	v_addc_co_u32_e32 v3, vcc, v3, v9, vcc
	global_load_dword v117, v[16:17], off offset:880
	global_load_dword v106, v[16:17], off offset:1204
	global_load_dword v107, v[16:17], off offset:232
	global_load_dword v9, v[2:3], off
	s_waitcnt vmcnt(21)
	v_lshrrev_b32_e32 v4, 16, v12
	s_waitcnt vmcnt(20)
	v_mul_f16_sdwa v5, v131, v4 dst_sel:DWORD dst_unused:UNUSED_PAD src0_sel:WORD_1 src1_sel:DWORD
	v_mul_f16_sdwa v8, v131, v12 dst_sel:DWORD dst_unused:UNUSED_PAD src0_sel:WORD_1 src1_sel:DWORD
	v_fma_f16 v5, v131, v12, v5
	v_fma_f16 v4, v131, v4, -v8
	v_pack_b32_f16 v4, v5, v4
	ds_write_b32 v0, v4 offset:8748
	s_waitcnt vmcnt(19)
	v_lshrrev_b32_e32 v4, 16, v13
	v_mul_f16_sdwa v5, v128, v4 dst_sel:DWORD dst_unused:UNUSED_PAD src0_sel:WORD_1 src1_sel:DWORD
	v_mul_f16_sdwa v8, v128, v13 dst_sel:DWORD dst_unused:UNUSED_PAD src0_sel:WORD_1 src1_sel:DWORD
	v_fma_f16 v5, v128, v13, v5
	v_fma_f16 v4, v128, v4, -v8
	v_pack_b32_f16 v4, v5, v4
	ds_write2_b32 v0, v6, v4 offset1:81
	s_waitcnt vmcnt(12)
	v_lshrrev_b32_e32 v4, 16, v11
	v_mul_f16_sdwa v5, v127, v4 dst_sel:DWORD dst_unused:UNUSED_PAD src0_sel:WORD_1 src1_sel:DWORD
	v_mul_f16_sdwa v6, v127, v11 dst_sel:DWORD dst_unused:UNUSED_PAD src0_sel:WORD_1 src1_sel:DWORD
	v_fma_f16 v5, v127, v11, v5
	v_fma_f16 v4, v127, v4, -v6
	v_pack_b32_f16 v4, v5, v4
	s_waitcnt vmcnt(11)
	v_lshrrev_b32_e32 v5, 16, v15
	v_mul_f16_sdwa v6, v123, v5 dst_sel:DWORD dst_unused:UNUSED_PAD src0_sel:WORD_1 src1_sel:DWORD
	v_mul_f16_sdwa v8, v123, v15 dst_sel:DWORD dst_unused:UNUSED_PAD src0_sel:WORD_1 src1_sel:DWORD
	v_mov_b32_e32 v10, s6
	v_add_co_u32_e32 v2, vcc, s7, v2
	v_fma_f16 v6, v123, v15, v6
	v_fma_f16 v5, v123, v5, -v8
	v_addc_co_u32_e32 v3, vcc, v3, v10, vcc
	v_pack_b32_f16 v5, v6, v5
	s_waitcnt vmcnt(10)
	v_lshrrev_b32_e32 v6, 16, v18
	global_load_dword v10, v[2:3], off
	v_mov_b32_e32 v13, s6
	v_add_co_u32_e32 v2, vcc, s7, v2
	v_mul_f16_sdwa v8, v125, v6 dst_sel:DWORD dst_unused:UNUSED_PAD src0_sel:WORD_1 src1_sel:DWORD
	v_mul_f16_sdwa v11, v125, v18 dst_sel:DWORD dst_unused:UNUSED_PAD src0_sel:WORD_1 src1_sel:DWORD
	v_addc_co_u32_e32 v3, vcc, v3, v13, vcc
	v_fma_f16 v8, v125, v18, v8
	v_fma_f16 v6, v125, v6, -v11
	global_load_dword v13, v[2:3], off
	v_mad_u64_u32 v[2:3], s[12:13], s12, v116, v[2:3]
	v_pack_b32_f16 v6, v8, v6
	s_waitcnt vmcnt(11)
	v_lshrrev_b32_e32 v8, 16, v19
	v_mul_f16_sdwa v11, v124, v8 dst_sel:DWORD dst_unused:UNUSED_PAD src0_sel:WORD_1 src1_sel:DWORD
	v_mul_f16_sdwa v12, v124, v19 dst_sel:DWORD dst_unused:UNUSED_PAD src0_sel:WORD_1 src1_sel:DWORD
	v_fma_f16 v11, v124, v19, v11
	v_fma_f16 v8, v124, v8, -v12
	v_pack_b32_f16 v8, v11, v8
	s_waitcnt vmcnt(10)
	v_lshrrev_b32_e32 v11, 16, v20
	v_mul_f16_sdwa v14, v122, v20 dst_sel:DWORD dst_unused:UNUSED_PAD src0_sel:WORD_1 src1_sel:DWORD
	v_add_u32_e32 v3, s0, v3
	v_mul_f16_sdwa v12, v122, v11 dst_sel:DWORD dst_unused:UNUSED_PAD src0_sel:WORD_1 src1_sel:DWORD
	v_fma_f16 v11, v122, v11, -v14
	global_load_dword v14, v[2:3], off
	v_fma_f16 v12, v122, v20, v12
	v_pack_b32_f16 v11, v12, v11
	v_mov_b32_e32 v12, s6
	v_add_co_u32_e32 v2, vcc, s7, v2
	v_addc_co_u32_e32 v3, vcc, v3, v12, vcc
	global_load_dword v12, v[2:3], off
	v_mov_b32_e32 v19, s6
	v_add_co_u32_e32 v2, vcc, s7, v2
	v_addc_co_u32_e32 v3, vcc, v3, v19, vcc
	global_load_dword v19, v[2:3], off
	v_mov_b32_e32 v20, s6
	v_add_co_u32_e32 v2, vcc, s7, v2
	s_waitcnt vmcnt(9)
	v_lshrrev_b32_e32 v15, 16, v7
	v_addc_co_u32_e32 v3, vcc, v3, v20, vcc
	v_mul_f16_sdwa v18, v120, v15 dst_sel:DWORD dst_unused:UNUSED_PAD src0_sel:WORD_1 src1_sel:DWORD
	global_load_dword v20, v[2:3], off
	v_fma_f16 v18, v120, v7, v18
	v_mul_f16_sdwa v7, v120, v7 dst_sel:DWORD dst_unused:UNUSED_PAD src0_sel:WORD_1 src1_sel:DWORD
	v_fma_f16 v7, v120, v15, -v7
	v_mov_b32_e32 v15, s6
	v_add_co_u32_e32 v2, vcc, s7, v2
	v_addc_co_u32_e32 v3, vcc, v3, v15, vcc
	global_load_dword v15, v[2:3], off
	v_add_co_u32_e32 v2, vcc, s7, v2
	v_addc_co_u32_e32 v3, vcc, v3, v22, vcc
	global_load_dword v22, v[2:3], off
	v_add_co_u32_e32 v2, vcc, s7, v2
	v_pack_b32_f16 v7, v18, v7
	s_waitcnt vmcnt(8)
	v_lshrrev_b32_e32 v18, 16, v9
	v_addc_co_u32_e32 v3, vcc, v3, v23, vcc
	v_mul_f16_sdwa v21, v119, v18 dst_sel:DWORD dst_unused:UNUSED_PAD src0_sel:WORD_1 src1_sel:DWORD
	global_load_dword v23, v[2:3], off
	v_fma_f16 v21, v119, v9, v21
	v_mul_f16_sdwa v9, v119, v9 dst_sel:DWORD dst_unused:UNUSED_PAD src0_sel:WORD_1 src1_sel:DWORD
	v_fma_f16 v9, v119, v18, -v9
	v_mov_b32_e32 v18, s6
	v_add_co_u32_e32 v2, vcc, s7, v2
	v_addc_co_u32_e32 v3, vcc, v3, v18, vcc
	global_load_dword v18, v[2:3], off
	v_add_co_u32_e32 v2, vcc, s7, v2
	v_addc_co_u32_e32 v3, vcc, v3, v25, vcc
	global_load_dword v25, v[2:3], off
	v_add_co_u32_e32 v2, vcc, s7, v2
	v_addc_co_u32_e32 v3, vcc, v3, v26, vcc
	global_load_dword v2, v[2:3], off
	v_pack_b32_f16 v9, v21, v9
	s_waitcnt vmcnt(11)
	v_lshrrev_b32_e32 v21, 16, v10
	v_mul_f16_sdwa v24, v118, v21 dst_sel:DWORD dst_unused:UNUSED_PAD src0_sel:WORD_1 src1_sel:DWORD
	v_fma_f16 v24, v118, v10, v24
	v_mul_f16_sdwa v10, v118, v10 dst_sel:DWORD dst_unused:UNUSED_PAD src0_sel:WORD_1 src1_sel:DWORD
	v_fma_f16 v3, v118, v21, -v10
	s_waitcnt vmcnt(10)
	v_lshrrev_b32_e32 v10, 16, v13
	v_mul_f16_sdwa v21, v117, v10 dst_sel:DWORD dst_unused:UNUSED_PAD src0_sel:WORD_1 src1_sel:DWORD
	v_fma_f16 v21, v117, v13, v21
	v_mul_f16_sdwa v13, v117, v13 dst_sel:DWORD dst_unused:UNUSED_PAD src0_sel:WORD_1 src1_sel:DWORD
	v_fma_f16 v10, v117, v10, -v13
	v_pack_b32_f16 v10, v21, v10
	v_pack_b32_f16 v3, v24, v3
	s_movk_i32 s7, 0x3b9c
	s_mov_b32 s13, 0xbb9c
	s_movk_i32 s12, 0x34f2
	s_waitcnt vmcnt(9)
	v_lshrrev_b32_e32 v13, 16, v14
	v_mul_f16_sdwa v21, v115, v13 dst_sel:DWORD dst_unused:UNUSED_PAD src0_sel:WORD_1 src1_sel:DWORD
	v_fma_f16 v21, v115, v14, v21
	v_mul_f16_sdwa v14, v115, v14 dst_sel:DWORD dst_unused:UNUSED_PAD src0_sel:WORD_1 src1_sel:DWORD
	v_fma_f16 v13, v115, v13, -v14
	v_pack_b32_f16 v13, v21, v13
	ds_write_b32 v0, v13 offset:648
	s_movk_i32 s6, 0x38b4
	s_waitcnt vmcnt(8)
	v_lshrrev_b32_e32 v13, 16, v12
	v_mul_f16_sdwa v14, v114, v13 dst_sel:DWORD dst_unused:UNUSED_PAD src0_sel:WORD_1 src1_sel:DWORD
	v_fma_f16 v14, v114, v12, v14
	v_mul_f16_sdwa v12, v114, v12 dst_sel:DWORD dst_unused:UNUSED_PAD src0_sel:WORD_1 src1_sel:DWORD
	v_fma_f16 v12, v114, v13, -v12
	v_pack_b32_f16 v12, v14, v12
	ds_write2_b32 v133, v4, v12 offset0:68 offset1:149
	s_waitcnt vmcnt(7)
	v_lshrrev_b32_e32 v4, 16, v19
	v_mul_f16_sdwa v12, v113, v4 dst_sel:DWORD dst_unused:UNUSED_PAD src0_sel:WORD_1 src1_sel:DWORD
	v_mul_f16_sdwa v13, v113, v19 dst_sel:DWORD dst_unused:UNUSED_PAD src0_sel:WORD_1 src1_sel:DWORD
	v_fma_f16 v12, v113, v19, v12
	v_fma_f16 v4, v113, v4, -v13
	v_pack_b32_f16 v4, v12, v4
	ds_write2_b32 v149, v5, v4 offset0:55 offset1:136
	s_waitcnt vmcnt(6)
	v_lshrrev_b32_e32 v4, 16, v20
	v_mul_f16_sdwa v5, v112, v4 dst_sel:DWORD dst_unused:UNUSED_PAD src0_sel:WORD_1 src1_sel:DWORD
	v_mul_f16_sdwa v12, v112, v20 dst_sel:DWORD dst_unused:UNUSED_PAD src0_sel:WORD_1 src1_sel:DWORD
	v_fma_f16 v5, v112, v20, v5
	;; [unrolled: 8-line block ×7, first 2 shown]
	v_fma_f16 v4, v107, v4, -v6
	v_pack_b32_f16 v4, v5, v4
	ds_write2_b32 v151, v3, v4 offset0:105 offset1:186
	s_waitcnt vmcnt(0)
	v_lshrrev_b32_e32 v3, 16, v2
	v_mul_f16_sdwa v4, v106, v3 dst_sel:DWORD dst_unused:UNUSED_PAD src0_sel:WORD_1 src1_sel:DWORD
	v_fma_f16 v4, v106, v2, v4
	v_mul_f16_sdwa v2, v106, v2 dst_sel:DWORD dst_unused:UNUSED_PAD src0_sel:WORD_1 src1_sel:DWORD
	v_fma_f16 v2, v106, v3, -v2
	v_pack_b32_f16 v2, v4, v2
	ds_write2_b32 v121, v10, v2 offset0:92 offset1:173
	s_waitcnt lgkmcnt(0)
	s_barrier
	ds_read2_b32 v[14:15], v0 offset1:81
	ds_read2_b32 v[12:13], v150 offset0:102 offset1:183
	ds_read2_b32 v[2:3], v149 offset0:136 offset1:217
	;; [unrolled: 1-line block ×7, first 2 shown]
	s_waitcnt lgkmcnt(7)
	v_lshrrev_b32_e32 v25, 16, v14
	s_waitcnt lgkmcnt(4)
	v_sub_f16_e32 v10, v18, v12
	s_waitcnt lgkmcnt(3)
	v_sub_f16_e32 v33, v5, v3
	s_waitcnt lgkmcnt(2)
	v_add_f16_e32 v8, v12, v20
	s_waitcnt lgkmcnt(1)
	v_sub_f16_sdwa v27, v18, v22 dst_sel:DWORD dst_unused:UNUSED_PAD src0_sel:WORD_1 src1_sel:WORD_1
	v_fma_f16 v8, v8, -0.5, v14
	v_sub_f16_sdwa v26, v12, v20 dst_sel:DWORD dst_unused:UNUSED_PAD src0_sel:WORD_1 src1_sel:WORD_1
	v_fma_f16 v9, v27, s13, v8
	v_sub_f16_e32 v11, v22, v20
	v_fma_f16 v8, v27, s7, v8
	v_add_f16_e32 v10, v10, v11
	v_fma_f16 v8, v26, s14, v8
	v_fma_f16 v24, v10, s12, v8
	v_add_f16_sdwa v8, v12, v20 dst_sel:DWORD dst_unused:UNUSED_PAD src0_sel:WORD_1 src1_sel:WORD_1
	v_fma_f16 v9, v26, s6, v9
	v_sub_f16_e32 v31, v18, v22
	v_fma_f16 v8, v8, -0.5, v25
	v_fma_f16 v29, v10, s12, v9
	v_sub_f16_e32 v30, v12, v20
	v_fma_f16 v9, v31, s7, v8
	v_sub_f16_sdwa v10, v18, v12 dst_sel:DWORD dst_unused:UNUSED_PAD src0_sel:WORD_1 src1_sel:WORD_1
	v_sub_f16_sdwa v11, v22, v20 dst_sel:DWORD dst_unused:UNUSED_PAD src0_sel:WORD_1 src1_sel:WORD_1
	v_fma_f16 v9, v30, s14, v9
	v_add_f16_e32 v10, v10, v11
	v_fma_f16 v32, v10, s12, v9
	v_fma_f16 v11, v31, s13, v8
	ds_read2_b32 v[8:9], v140 offset0:58 offset1:139
	v_fma_f16 v11, v30, s6, v11
	v_fma_f16 v28, v10, s12, v11
	ds_read2_b32 v[10:11], v0 offset0:162 offset1:243
	s_waitcnt lgkmcnt(2)
	v_sub_f16_sdwa v46, v5, v7 dst_sel:DWORD dst_unused:UNUSED_PAD src0_sel:WORD_1 src1_sel:WORD_1
	s_waitcnt lgkmcnt(1)
	v_sub_f16_e32 v34, v7, v9
	v_add_f16_e32 v33, v33, v34
	v_add_f16_e32 v34, v3, v9
	s_waitcnt lgkmcnt(0)
	v_fma_f16 v34, v34, -0.5, v11
	v_sub_f16_sdwa v39, v3, v9 dst_sel:DWORD dst_unused:UNUSED_PAD src0_sel:WORD_1 src1_sel:WORD_1
	v_fma_f16 v35, v46, s13, v34
	v_fma_f16 v34, v46, s7, v34
	;; [unrolled: 1-line block ×6, first 2 shown]
	v_sub_f16_sdwa v34, v5, v3 dst_sel:DWORD dst_unused:UNUSED_PAD src0_sel:WORD_1 src1_sel:WORD_1
	v_sub_f16_sdwa v36, v7, v9 dst_sel:DWORD dst_unused:UNUSED_PAD src0_sel:WORD_1 src1_sel:WORD_1
	v_add_f16_e32 v34, v34, v36
	v_lshrrev_b32_e32 v36, 16, v11
	v_add_f16_sdwa v37, v3, v9 dst_sel:DWORD dst_unused:UNUSED_PAD src0_sel:WORD_1 src1_sel:WORD_1
	v_fma_f16 v37, v37, -0.5, v36
	v_sub_f16_e32 v48, v5, v7
	v_sub_f16_e32 v47, v3, v9
	v_fma_f16 v38, v48, s7, v37
	v_fma_f16 v38, v47, s14, v38
	v_fma_f16 v37, v48, s13, v37
	v_fma_f16 v38, v34, s12, v38
	v_fma_f16 v37, v47, s6, v37
	v_fma_f16 v34, v34, s12, v37
	v_mul_f16_e32 v37, 0x3b9c, v38
	v_fma_f16 v49, v35, s12, v37
	v_mul_f16_e32 v35, 0xbb9c, v35
	v_fma_f16 v50, v38, s12, v35
	;; [unrolled: 2-line block ×4, first 2 shown]
	v_add_f16_e32 v33, v24, v51
	v_add_f16_e32 v34, v28, v52
	v_pack_b32_f16 v34, v33, v34
	v_add_f16_e32 v33, v29, v49
	v_add_f16_e32 v35, v32, v50
	v_pack_b32_f16 v33, v33, v35
	v_sub_f16_e32 v35, v12, v18
	v_sub_f16_e32 v37, v20, v22
	v_add_f16_e32 v53, v35, v37
	v_sub_f16_sdwa v35, v12, v18 dst_sel:DWORD dst_unused:UNUSED_PAD src0_sel:WORD_1 src1_sel:WORD_1
	v_sub_f16_sdwa v37, v20, v22 dst_sel:DWORD dst_unused:UNUSED_PAD src0_sel:WORD_1 src1_sel:WORD_1
	v_add_f16_e32 v54, v35, v37
	v_sub_f16_e32 v35, v3, v5
	v_sub_f16_e32 v37, v9, v7
	v_add_f16_e32 v55, v35, v37
	v_sub_f16_sdwa v35, v3, v5 dst_sel:DWORD dst_unused:UNUSED_PAD src0_sel:WORD_1 src1_sel:WORD_1
	v_sub_f16_sdwa v37, v9, v7 dst_sel:DWORD dst_unused:UNUSED_PAD src0_sel:WORD_1 src1_sel:WORD_1
	v_add_f16_e32 v56, v35, v37
	v_add_f16_e32 v35, v5, v7
	v_fma_f16 v57, v35, -0.5, v11
	v_add_f16_sdwa v37, v5, v7 dst_sel:DWORD dst_unused:UNUSED_PAD src0_sel:WORD_1 src1_sel:WORD_1
	v_fma_f16 v35, v39, s7, v57
	v_fma_f16 v58, v37, -0.5, v36
	v_fma_f16 v35, v46, s6, v35
	v_fma_f16 v37, v47, s13, v58
	;; [unrolled: 1-line block ×5, first 2 shown]
	v_mul_f16_e32 v38, 0x3a79, v35
	v_mul_f16_e32 v35, 0xb8b4, v35
	v_fma_f16 v60, v37, s15, v35
	v_add_f16_e32 v35, v14, v12
	v_add_f16_e32 v35, v35, v18
	;; [unrolled: 1-line block ×5, first 2 shown]
	v_fma_f16 v14, v35, -0.5, v14
	v_fma_f16 v35, v26, s7, v14
	v_fma_f16 v35, v27, s6, v35
	v_add_f16_sdwa v12, v25, v12 dst_sel:DWORD dst_unused:UNUSED_PAD src0_sel:DWORD src1_sel:WORD_1
	v_fma_f16 v62, v53, s12, v35
	v_add_f16_sdwa v35, v18, v22 dst_sel:DWORD dst_unused:UNUSED_PAD src0_sel:WORD_1 src1_sel:WORD_1
	v_add_f16_sdwa v12, v12, v18 dst_sel:DWORD dst_unused:UNUSED_PAD src0_sel:DWORD src1_sel:WORD_1
	v_fma_f16 v63, v35, -0.5, v25
	v_add_f16_sdwa v12, v12, v22 dst_sel:DWORD dst_unused:UNUSED_PAD src0_sel:DWORD src1_sel:WORD_1
	v_add_f16_sdwa v18, v12, v20 dst_sel:DWORD dst_unused:UNUSED_PAD src0_sel:DWORD src1_sel:WORD_1
	v_fma_f16 v12, v30, s13, v63
	v_add_f16_e32 v11, v11, v3
	v_add_f16_sdwa v3, v36, v3 dst_sel:DWORD dst_unused:UNUSED_PAD src0_sel:DWORD src1_sel:WORD_1
	v_fma_f16 v12, v31, s14, v12
	v_add_f16_e32 v11, v11, v5
	v_add_f16_sdwa v3, v3, v5 dst_sel:DWORD dst_unused:UNUSED_PAD src0_sel:DWORD src1_sel:WORD_1
	v_fma_f16 v59, v37, s6, v38
	v_fma_f16 v20, v54, s12, v12
	v_add_f16_e32 v11, v11, v7
	v_add_f16_sdwa v3, v3, v7 dst_sel:DWORD dst_unused:UNUSED_PAD src0_sel:DWORD src1_sel:WORD_1
	v_add_f16_e32 v22, v11, v9
	v_add_f16_sdwa v3, v3, v9 dst_sel:DWORD dst_unused:UNUSED_PAD src0_sel:DWORD src1_sel:WORD_1
	v_add_f16_e32 v5, v62, v59
	v_add_f16_e32 v7, v20, v60
	v_pack_b32_f16 v12, v5, v7
	v_add_f16_e32 v5, v61, v22
	v_add_f16_e32 v7, v18, v3
	v_pack_b32_f16 v11, v5, v7
	v_mul_lo_u16_e32 v5, 10, v142
	v_lshlrev_b32_e32 v152, 2, v5
	v_sub_f16_e32 v5, v62, v59
	v_sub_f16_e32 v9, v20, v60
	ds_read2_b32 v[35:36], v133 offset0:68 offset1:149
	ds_read2_b32 v[37:38], v130 offset0:42 offset1:123
	;; [unrolled: 1-line block ×5, first 2 shown]
	s_waitcnt lgkmcnt(0)
	s_barrier
	ds_write2_b64 v152, v[11:12], v[33:34] offset1:1
	v_pack_b32_f16 v11, v5, v9
	v_fma_f16 v9, v39, s13, v57
	v_fma_f16 v5, v26, s13, v14
	;; [unrolled: 1-line block ×4, first 2 shown]
	v_sub_f16_e32 v7, v29, v49
	v_sub_f16_e32 v12, v32, v50
	v_fma_f16 v9, v55, s12, v9
	v_fma_f16 v14, v48, s6, v14
	v_pack_b32_f16 v12, v7, v12
	v_fma_f16 v7, v30, s7, v63
	v_fma_f16 v14, v56, s12, v14
	v_mul_f16_e32 v20, 0xba79, v9
	v_fma_f16 v5, v27, s14, v5
	v_fma_f16 v7, v31, s6, v7
	;; [unrolled: 1-line block ×3, first 2 shown]
	v_mul_f16_e32 v14, 0xba79, v14
	v_fma_f16 v5, v53, s12, v5
	v_fma_f16 v7, v54, s12, v7
	;; [unrolled: 1-line block ×3, first 2 shown]
	v_sub_f16_e32 v14, v61, v22
	v_sub_f16_e32 v3, v18, v3
	v_add_f16_e32 v18, v5, v20
	v_add_f16_e32 v22, v7, v9
	v_pack_b32_f16 v25, v18, v22
	v_pack_b32_f16 v26, v14, v3
	ds_write2_b64 v152, v[25:26], v[11:12] offset0:2 offset1:3
	v_add_f16_e32 v11, v13, v21
	v_fma_f16 v14, v11, -0.5, v15
	v_lshrrev_b32_e32 v18, 16, v15
	v_add_f16_e32 v11, v15, v13
	v_add_f16_e32 v11, v11, v19
	v_add_f16_sdwa v12, v18, v13 dst_sel:DWORD dst_unused:UNUSED_PAD src0_sel:DWORD src1_sel:WORD_1
	v_add_f16_sdwa v12, v12, v19 dst_sel:DWORD dst_unused:UNUSED_PAD src0_sel:DWORD src1_sel:WORD_1
	v_add_f16_e32 v11, v11, v23
	v_add_f16_e32 v3, v19, v23
	v_add_f16_sdwa v12, v12, v23 dst_sel:DWORD dst_unused:UNUSED_PAD src0_sel:DWORD src1_sel:WORD_1
	v_add_f16_e32 v39, v11, v21
	v_sub_f16_e32 v11, v24, v51
	v_sub_f16_e32 v5, v5, v20
	;; [unrolled: 1-line block ×4, first 2 shown]
	v_fma_f16 v3, v3, -0.5, v15
	v_sub_f16_sdwa v15, v19, v23 dst_sel:DWORD dst_unused:UNUSED_PAD src0_sel:WORD_1 src1_sel:WORD_1
	v_sub_f16_e32 v22, v13, v19
	v_sub_f16_e32 v25, v19, v13
	v_add_f16_sdwa v26, v19, v23 dst_sel:DWORD dst_unused:UNUSED_PAD src0_sel:WORD_1 src1_sel:WORD_1
	v_sub_f16_e32 v27, v19, v23
	v_sub_f16_sdwa v29, v13, v19 dst_sel:DWORD dst_unused:UNUSED_PAD src0_sel:WORD_1 src1_sel:WORD_1
	v_sub_f16_sdwa v19, v19, v13 dst_sel:DWORD dst_unused:UNUSED_PAD src0_sel:WORD_1 src1_sel:WORD_1
	;; [unrolled: 1-line block ×3, first 2 shown]
	v_sub_f16_e32 v31, v13, v21
	v_add_f16_sdwa v13, v13, v21 dst_sel:DWORD dst_unused:UNUSED_PAD src0_sel:WORD_1 src1_sel:WORD_1
	v_sub_f16_e32 v32, v21, v23
	v_sub_f16_e32 v33, v23, v21
	v_sub_f16_sdwa v34, v21, v23 dst_sel:DWORD dst_unused:UNUSED_PAD src0_sel:WORD_1 src1_sel:WORD_1
	v_sub_f16_sdwa v23, v23, v21 dst_sel:DWORD dst_unused:UNUSED_PAD src0_sel:WORD_1 src1_sel:WORD_1
	v_add_f16_sdwa v21, v12, v21 dst_sel:DWORD dst_unused:UNUSED_PAD src0_sel:DWORD src1_sel:WORD_1
	v_pack_b32_f16 v12, v5, v7
	v_pack_b32_f16 v11, v11, v20
	ds_write_b64 v152, v[11:12] offset:32
	v_fma_f16 v7, v15, s13, v14
	v_fma_f16 v9, v15, s7, v14
	v_fma_f16 v11, v13, -0.5, v18
	v_add_f16_e32 v5, v25, v33
	v_fma_f16 v7, v30, s6, v7
	v_fma_f16 v9, v30, s14, v9
	;; [unrolled: 1-line block ×6, first 2 shown]
	v_add_f16_e32 v9, v19, v23
	v_fma_f16 v12, v31, s14, v12
	v_fma_f16 v11, v31, s6, v11
	;; [unrolled: 1-line block ×4, first 2 shown]
	v_sub_f16_e32 v11, v40, v37
	v_sub_f16_e32 v12, v42, v44
	v_add_f16_e32 v11, v11, v12
	v_add_f16_e32 v12, v37, v44
	v_fma_f16 v12, v12, -0.5, v35
	v_sub_f16_sdwa v23, v40, v42 dst_sel:DWORD dst_unused:UNUSED_PAD src0_sel:WORD_1 src1_sel:WORD_1
	v_sub_f16_sdwa v20, v37, v44 dst_sel:DWORD dst_unused:UNUSED_PAD src0_sel:WORD_1 src1_sel:WORD_1
	v_fma_f16 v13, v23, s13, v12
	v_fma_f16 v12, v23, s7, v12
	;; [unrolled: 1-line block ×6, first 2 shown]
	v_sub_f16_sdwa v12, v40, v37 dst_sel:DWORD dst_unused:UNUSED_PAD src0_sel:WORD_1 src1_sel:WORD_1
	v_sub_f16_sdwa v14, v42, v44 dst_sel:DWORD dst_unused:UNUSED_PAD src0_sel:WORD_1 src1_sel:WORD_1
	v_add_f16_e32 v12, v12, v14
	v_lshrrev_b32_e32 v14, 16, v35
	v_add_f16_sdwa v24, v37, v44 dst_sel:DWORD dst_unused:UNUSED_PAD src0_sel:WORD_1 src1_sel:WORD_1
	v_fma_f16 v24, v24, -0.5, v14
	v_sub_f16_e32 v28, v40, v42
	v_sub_f16_e32 v25, v37, v44
	v_fma_f16 v33, v28, s7, v24
	v_fma_f16 v33, v25, s14, v33
	;; [unrolled: 1-line block ×6, first 2 shown]
	v_mul_f16_e32 v24, 0x3b9c, v33
	v_fma_f16 v24, v13, s12, v24
	v_mul_f16_e32 v13, 0xbb9c, v13
	v_fma_f16 v33, v33, s12, v13
	;; [unrolled: 2-line block ×4, first 2 shown]
	v_add_f16_e32 v11, v5, v46
	v_add_f16_e32 v12, v9, v47
	v_pack_b32_f16 v12, v11, v12
	v_add_f16_e32 v11, v7, v24
	v_add_f16_e32 v13, v19, v33
	v_pack_b32_f16 v11, v11, v13
	v_fma_f16 v18, v26, -0.5, v18
	v_add_f16_e32 v26, v29, v34
	v_sub_f16_e32 v13, v37, v40
	v_sub_f16_e32 v29, v44, v42
	v_add_f16_e32 v22, v22, v32
	v_add_f16_e32 v29, v13, v29
	v_sub_f16_sdwa v13, v37, v40 dst_sel:DWORD dst_unused:UNUSED_PAD src0_sel:WORD_1 src1_sel:WORD_1
	v_sub_f16_sdwa v32, v44, v42 dst_sel:DWORD dst_unused:UNUSED_PAD src0_sel:WORD_1 src1_sel:WORD_1
	v_add_f16_e32 v32, v13, v32
	v_add_f16_e32 v13, v40, v42
	v_fma_f16 v34, v13, -0.5, v35
	v_add_f16_sdwa v48, v40, v42 dst_sel:DWORD dst_unused:UNUSED_PAD src0_sel:WORD_1 src1_sel:WORD_1
	v_fma_f16 v13, v20, s7, v34
	v_fma_f16 v48, v48, -0.5, v14
	v_fma_f16 v13, v23, s6, v13
	v_fma_f16 v49, v25, s13, v48
	;; [unrolled: 1-line block ×5, first 2 shown]
	v_mul_f16_e32 v50, 0x3a79, v13
	v_mul_f16_e32 v13, 0xb8b4, v13
	v_fma_f16 v50, v49, s6, v50
	v_fma_f16 v49, v49, s15, v13
	;; [unrolled: 1-line block ×8, first 2 shown]
	v_add_f16_e32 v13, v35, v37
	v_add_f16_e32 v13, v13, v40
	;; [unrolled: 1-line block ×4, first 2 shown]
	v_add_f16_sdwa v13, v14, v37 dst_sel:DWORD dst_unused:UNUSED_PAD src0_sel:DWORD src1_sel:WORD_1
	v_add_f16_sdwa v13, v13, v40 dst_sel:DWORD dst_unused:UNUSED_PAD src0_sel:DWORD src1_sel:WORD_1
	;; [unrolled: 1-line block ×4, first 2 shown]
	v_add_f16_e32 v13, v51, v50
	v_add_f16_e32 v14, v53, v49
	v_add_co_u32_e32 v52, vcc, s17, v142
	v_pack_b32_f16 v14, v13, v14
	v_add_f16_e32 v13, v39, v35
	v_add_f16_e32 v40, v21, v37
	v_mul_u32_u24_e32 v42, 10, v52
	v_pack_b32_f16 v13, v13, v40
	v_lshlrev_b32_e32 v153, 2, v42
	ds_write2_b64 v153, v[13:14], v[11:12] offset1:1
	v_sub_f16_e32 v11, v51, v50
	v_sub_f16_e32 v7, v7, v24
	;; [unrolled: 1-line block ×4, first 2 shown]
	v_pack_b32_f16 v11, v11, v12
	v_pack_b32_f16 v12, v7, v13
	v_fma_f16 v13, v20, s13, v34
	v_fma_f16 v13, v23, s14, v13
	;; [unrolled: 1-line block ×9, first 2 shown]
	v_mul_f16_e32 v15, 0xba79, v13
	v_fma_f16 v7, v27, s6, v7
	v_fma_f16 v15, v14, s6, v15
	v_mul_f16_e32 v14, 0xba79, v14
	v_fma_f16 v3, v22, s12, v3
	v_fma_f16 v7, v26, s12, v7
	;; [unrolled: 1-line block ×3, first 2 shown]
	v_sub_f16_e32 v14, v39, v35
	v_sub_f16_e32 v19, v21, v37
	v_add_f16_e32 v13, v3, v15
	v_add_f16_e32 v20, v7, v18
	v_pack_b32_f16 v13, v13, v20
	v_pack_b32_f16 v14, v14, v19
	ds_write2_b64 v153, v[13:14], v[11:12] offset0:2 offset1:3
	v_add_f16_e32 v11, v4, v6
	v_add_f16_e32 v12, v2, v8
	v_fma_f16 v11, v11, -0.5, v10
	v_fma_f16 v12, v12, -0.5, v10
	v_lshrrev_b32_e32 v13, 16, v10
	v_add_f16_e32 v10, v10, v2
	v_add_f16_e32 v10, v10, v4
	v_add_f16_sdwa v14, v13, v2 dst_sel:DWORD dst_unused:UNUSED_PAD src0_sel:DWORD src1_sel:WORD_1
	v_add_f16_sdwa v14, v14, v4 dst_sel:DWORD dst_unused:UNUSED_PAD src0_sel:DWORD src1_sel:WORD_1
	v_sub_f16_sdwa v19, v4, v6 dst_sel:DWORD dst_unused:UNUSED_PAD src0_sel:WORD_1 src1_sel:WORD_1
	v_sub_f16_e32 v20, v2, v4
	v_sub_f16_e32 v21, v4, v2
	v_add_f16_sdwa v22, v4, v6 dst_sel:DWORD dst_unused:UNUSED_PAD src0_sel:WORD_1 src1_sel:WORD_1
	v_sub_f16_e32 v23, v4, v6
	v_sub_f16_sdwa v24, v2, v4 dst_sel:DWORD dst_unused:UNUSED_PAD src0_sel:WORD_1 src1_sel:WORD_1
	v_sub_f16_sdwa v4, v4, v2 dst_sel:DWORD dst_unused:UNUSED_PAD src0_sel:WORD_1 src1_sel:WORD_1
	;; [unrolled: 1-line block ×3, first 2 shown]
	v_sub_f16_e32 v26, v2, v8
	v_add_f16_sdwa v27, v2, v8 dst_sel:DWORD dst_unused:UNUSED_PAD src0_sel:WORD_1 src1_sel:WORD_1
	v_add_f16_e32 v2, v10, v6
	v_add_f16_sdwa v10, v14, v6 dst_sel:DWORD dst_unused:UNUSED_PAD src0_sel:DWORD src1_sel:WORD_1
	v_add_f16_e32 v30, v2, v8
	v_add_f16_e32 v2, v41, v43
	v_sub_f16_e32 v14, v8, v6
	v_sub_f16_e32 v28, v6, v8
	v_sub_f16_sdwa v29, v8, v6 dst_sel:DWORD dst_unused:UNUSED_PAD src0_sel:WORD_1 src1_sel:WORD_1
	v_sub_f16_sdwa v6, v6, v8 dst_sel:DWORD dst_unused:UNUSED_PAD src0_sel:WORD_1 src1_sel:WORD_1
	v_add_f16_sdwa v8, v10, v8 dst_sel:DWORD dst_unused:UNUSED_PAD src0_sel:DWORD src1_sel:WORD_1
	v_fma_f16 v10, v2, -0.5, v36
	v_add_f16_e32 v2, v38, v45
	v_fma_f16 v31, v2, -0.5, v36
	v_add_f16_e32 v2, v36, v38
	v_add_f16_e32 v2, v2, v41
	;; [unrolled: 1-line block ×3, first 2 shown]
	v_sub_f16_e32 v3, v3, v15
	v_sub_f16_e32 v7, v7, v18
	v_add_f16_e32 v53, v2, v45
	v_sub_f16_e32 v2, v5, v46
	v_sub_f16_e32 v5, v9, v47
	v_pack_b32_f16 v3, v3, v7
	v_fma_f16 v7, v25, s7, v11
	v_fma_f16 v9, v25, s13, v11
	v_pack_b32_f16 v2, v2, v5
	v_add_f16_e32 v5, v20, v14
	v_fma_f16 v7, v19, s6, v7
	v_fma_f16 v9, v19, s14, v9
	;; [unrolled: 1-line block ×4, first 2 shown]
	v_fma_f16 v14, v22, -0.5, v13
	v_fma_f16 v7, v5, s12, v7
	v_fma_f16 v5, v5, s12, v9
	v_add_f16_e32 v9, v21, v28
	v_fma_f16 v11, v25, s6, v11
	v_fma_f16 v12, v25, s14, v12
	;; [unrolled: 1-line block ×4, first 2 shown]
	v_fma_f16 v13, v27, -0.5, v13
	v_sub_f16_sdwa v44, v38, v45 dst_sel:DWORD dst_unused:UNUSED_PAD src0_sel:WORD_1 src1_sel:WORD_1
	v_fma_f16 v11, v9, s12, v11
	v_fma_f16 v9, v9, s12, v12
	v_add_f16_e32 v12, v24, v29
	v_fma_f16 v15, v23, s14, v15
	v_fma_f16 v14, v23, s6, v14
	v_add_f16_e32 v4, v4, v6
	v_fma_f16 v6, v23, s7, v13
	v_fma_f16 v13, v23, s13, v13
	v_lshrrev_b32_e32 v32, 16, v36
	v_sub_f16_sdwa v34, v41, v43 dst_sel:DWORD dst_unused:UNUSED_PAD src0_sel:WORD_1 src1_sel:WORD_1
	v_sub_f16_e32 v35, v38, v41
	v_add_f16_sdwa v37, v41, v43 dst_sel:DWORD dst_unused:UNUSED_PAD src0_sel:WORD_1 src1_sel:WORD_1
	v_sub_f16_e32 v49, v45, v43
	v_fma_f16 v15, v12, s12, v15
	v_fma_f16 v12, v12, s12, v14
	;; [unrolled: 1-line block ×6, first 2 shown]
	v_sub_f16_e32 v36, v41, v38
	v_sub_f16_e32 v48, v38, v45
	v_sub_f16_e32 v50, v43, v45
	v_fma_f16 v6, v4, s12, v6
	v_fma_f16 v4, v4, s12, v13
	v_add_f16_e32 v13, v35, v49
	v_fma_f16 v14, v34, s6, v14
	v_fma_f16 v10, v34, s14, v10
	;; [unrolled: 1-line block ×4, first 2 shown]
	v_fma_f16 v20, v37, -0.5, v32
	v_add_f16_sdwa v33, v32, v38 dst_sel:DWORD dst_unused:UNUSED_PAD src0_sel:DWORD src1_sel:WORD_1
	v_sub_f16_e32 v39, v41, v43
	v_sub_f16_sdwa v42, v38, v41 dst_sel:DWORD dst_unused:UNUSED_PAD src0_sel:WORD_1 src1_sel:WORD_1
	v_sub_f16_sdwa v51, v45, v43 dst_sel:DWORD dst_unused:UNUSED_PAD src0_sel:WORD_1 src1_sel:WORD_1
	v_fma_f16 v14, v13, s12, v14
	v_fma_f16 v10, v13, s12, v10
	v_add_f16_e32 v13, v36, v50
	v_fma_f16 v18, v44, s6, v18
	v_fma_f16 v19, v44, s14, v19
	;; [unrolled: 1-line block ×4, first 2 shown]
	v_add_f16_sdwa v33, v33, v41 dst_sel:DWORD dst_unused:UNUSED_PAD src0_sel:DWORD src1_sel:WORD_1
	v_sub_f16_sdwa v41, v41, v38 dst_sel:DWORD dst_unused:UNUSED_PAD src0_sel:WORD_1 src1_sel:WORD_1
	v_add_f16_sdwa v38, v38, v45 dst_sel:DWORD dst_unused:UNUSED_PAD src0_sel:WORD_1 src1_sel:WORD_1
	v_fma_f16 v18, v13, s12, v18
	v_fma_f16 v13, v13, s12, v19
	v_add_f16_e32 v19, v42, v51
	v_fma_f16 v21, v39, s14, v21
	v_fma_f16 v20, v39, s6, v20
	;; [unrolled: 1-line block ×4, first 2 shown]
	v_fma_f16 v20, v38, -0.5, v32
	v_add_f16_sdwa v33, v33, v43 dst_sel:DWORD dst_unused:UNUSED_PAD src0_sel:DWORD src1_sel:WORD_1
	v_sub_f16_sdwa v43, v43, v45 dst_sel:DWORD dst_unused:UNUSED_PAD src0_sel:WORD_1 src1_sel:WORD_1
	v_fma_f16 v23, v39, s7, v20
	v_fma_f16 v20, v39, s13, v20
	v_add_f16_e32 v22, v41, v43
	v_fma_f16 v23, v48, s14, v23
	v_fma_f16 v20, v48, s6, v20
	v_fma_f16 v23, v22, s12, v23
	v_fma_f16 v20, v22, s12, v20
	v_mul_f16_e32 v22, 0x3a79, v14
	v_mul_f16_e32 v14, 0xb8b4, v14
	v_fma_f16 v22, v21, s6, v22
	v_fma_f16 v14, v21, s15, v14
	v_mul_f16_e32 v21, 0x3b9c, v23
	v_fma_f16 v21, v18, s12, v21
	v_mul_f16_e32 v18, 0xbb9c, v18
	;; [unrolled: 2-line block ×3, first 2 shown]
	v_addc_co_u32_e64 v40, s[0:1], 0, 0, vcc
	v_fma_f16 v23, v20, s7, v23
	v_mul_f16_e32 v20, 0xb4f2, v20
	s_movk_i32 s0, 0xa2
	v_fma_f16 v13, v13, s13, v20
	v_mul_f16_e32 v20, 0xba79, v10
	v_add_f16_sdwa v33, v33, v45 dst_sel:DWORD dst_unused:UNUSED_PAD src0_sel:DWORD src1_sel:WORD_1
	v_fma_f16 v20, v19, s6, v20
	v_mul_f16_e32 v19, 0xba79, v19
	v_add_co_u32_e32 v73, vcc, s0, v142
	v_fma_f16 v10, v10, s14, v19
	v_add_f16_e32 v19, v30, v53
	v_add_f16_e32 v25, v7, v22
	v_sub_f16_e32 v7, v7, v22
	v_add_f16_e32 v22, v11, v21
	v_sub_f16_e32 v11, v11, v21
	;; [unrolled: 2-line block ×4, first 2 shown]
	v_add_f16_e32 v26, v8, v33
	v_add_f16_e32 v5, v15, v14
	v_sub_f16_e32 v14, v15, v14
	v_add_f16_e32 v15, v6, v18
	v_sub_f16_e32 v6, v6, v18
	v_add_f16_e32 v18, v4, v13
	ds_write_b64 v153, v[2:3] offset:32
	v_mul_u32_u24_e32 v2, 10, v73
	v_sub_f16_e32 v24, v30, v53
	v_sub_f16_e32 v8, v8, v33
	v_sub_f16_e32 v13, v4, v13
	v_add_f16_e32 v27, v12, v10
	v_lshlrev_b32_e32 v154, 2, v2
	v_pack_b32_f16 v3, v25, v5
	v_pack_b32_f16 v5, v21, v18
	;; [unrolled: 1-line block ×4, first 2 shown]
	v_sub_f16_e32 v10, v12, v10
	ds_write2_b64 v154, v[2:3], v[4:5] offset1:1
	v_pack_b32_f16 v2, v7, v14
	v_pack_b32_f16 v3, v11, v6
	;; [unrolled: 1-line block ×4, first 2 shown]
	ds_write2_b64 v154, v[4:5], v[2:3] offset0:2 offset1:3
	v_pack_b32_f16 v3, v20, v10
	v_pack_b32_f16 v2, v9, v13
	s_movk_i32 s17, 0xcd
	ds_write_b64 v154, v[2:3] offset:32
	v_mul_lo_u16_sdwa v2, v142, s17 dst_sel:DWORD dst_unused:UNUSED_PAD src0_sel:BYTE_0 src1_sel:DWORD
	v_lshrrev_b16_e32 v10, 11, v2
	v_mul_lo_u16_e32 v2, 10, v10
	v_sub_u16_e32 v2, v142, v2
	v_and_b32_e32 v11, 0xff, v2
	v_lshlrev_b32_e32 v2, 3, v11
	s_waitcnt lgkmcnt(0)
	s_barrier
	global_load_dwordx2 v[2:3], v2, s[2:3]
	v_mul_lo_u16_sdwa v4, v52, s17 dst_sel:DWORD dst_unused:UNUSED_PAD src0_sel:BYTE_0 src1_sel:DWORD
	v_lshrrev_b16_e32 v15, 11, v4
	v_mul_lo_u16_e32 v4, 10, v15
	v_sub_u16_e32 v4, v52, v4
	v_and_b32_e32 v21, 0xff, v4
	v_mul_lo_u16_sdwa v4, v73, s17 dst_sel:DWORD dst_unused:UNUSED_PAD src0_sel:BYTE_0 src1_sel:DWORD
	v_lshrrev_b16_e32 v27, 11, v4
	s_movk_i32 s0, 0xf3
	v_mul_lo_u16_e32 v4, 10, v27
	v_add_co_u32_e32 v72, vcc, s0, v142
	v_sub_u16_e32 v4, v73, v4
	s_mov_b32 s17, 0xcccd
	v_and_b32_e32 v51, 0xff, v4
	v_mul_u32_u24_sdwa v4, v72, s17 dst_sel:DWORD dst_unused:UNUSED_PAD src0_sel:WORD_0 src1_sel:DWORD
	v_lshrrev_b32_e32 v57, 19, v4
	v_mul_lo_u16_e32 v4, 10, v57
	ds_read2_b32 v[13:14], v130 offset0:42 offset1:123
	v_sub_u16_e32 v58, v72, v4
	v_lshlrev_b16_e32 v4, 1, v58
	ds_read2_b32 v[19:20], v145 offset0:84 offset1:165
	v_lshlrev_b32_e32 v18, 3, v21
	v_lshlrev_b32_e32 v23, 2, v4
	;; [unrolled: 1-line block ×3, first 2 shown]
	global_load_dwordx2 v[8:9], v18, s[2:3]
	global_load_dwordx2 v[6:7], v22, s[2:3]
	;; [unrolled: 1-line block ×3, first 2 shown]
	ds_read2_b32 v[23:24], v0 offset1:81
	s_waitcnt lgkmcnt(2)
	v_lshrrev_b32_e32 v12, 16, v13
	s_waitcnt lgkmcnt(1)
	v_lshrrev_b32_e32 v22, 16, v19
	v_addc_co_u32_e64 v74, s[0:1], 0, 0, vcc
	s_waitcnt lgkmcnt(0)
	v_lshrrev_b32_e32 v26, 16, v23
	v_mul_u32_u24_e32 v10, 30, v10
	s_movk_i32 s0, 0x3aee
	s_mov_b32 s1, 0xbaee
	v_add_lshl_u32 v155, v10, v11, 2
	v_add_co_u32_e32 v92, vcc, s20, v142
	v_add_co_u32_e32 v94, vcc, s22, v142
	;; [unrolled: 1-line block ×6, first 2 shown]
	v_mul_u32_u24_e32 v15, 30, v15
	v_add_lshl_u32 v156, v15, v21, 2
	s_waitcnt vmcnt(3)
	v_mul_f16_sdwa v18, v13, v2 dst_sel:DWORD dst_unused:UNUSED_PAD src0_sel:DWORD src1_sel:WORD_1
	v_fma_f16 v18, v12, v2, v18
	v_mul_f16_sdwa v12, v12, v2 dst_sel:DWORD dst_unused:UNUSED_PAD src0_sel:DWORD src1_sel:WORD_1
	v_mul_f16_sdwa v25, v19, v3 dst_sel:DWORD dst_unused:UNUSED_PAD src0_sel:DWORD src1_sel:WORD_1
	v_fma_f16 v12, v13, v2, -v12
	v_mul_f16_sdwa v13, v22, v3 dst_sel:DWORD dst_unused:UNUSED_PAD src0_sel:DWORD src1_sel:WORD_1
	v_fma_f16 v25, v22, v3, v25
	v_fma_f16 v13, v19, v3, -v13
	v_add_f16_e32 v28, v26, v18
	v_sub_f16_e32 v59, v18, v25
	v_add_f16_e32 v18, v18, v25
	v_add_f16_e32 v19, v12, v13
	v_fma_f16 v60, v18, -0.5, v26
	v_sub_f16_e32 v61, v12, v13
	v_fma_f16 v63, v19, -0.5, v23
	v_fma_f16 v10, v59, s0, v63
	v_fma_f16 v11, v61, s1, v60
	v_pack_b32_f16 v64, v10, v11
	v_mul_u32_u24_sdwa v10, v92, s17 dst_sel:DWORD dst_unused:UNUSED_PAD src0_sel:WORD_0 src1_sel:DWORD
	v_lshrrev_b32_e32 v65, 19, v10
	v_mul_lo_u16_e32 v10, 10, v65
	v_sub_u16_e32 v66, v92, v10
	v_lshlrev_b16_e32 v10, 1, v66
	v_add_f16_e32 v28, v28, v25
	v_lshlrev_b32_e32 v25, 2, v10
	v_mul_u32_u24_sdwa v10, v94, s17 dst_sel:DWORD dst_unused:UNUSED_PAD src0_sel:WORD_0 src1_sel:DWORD
	v_lshrrev_b32_e32 v67, 19, v10
	v_mul_lo_u16_e32 v10, 10, v67
	v_sub_u16_e32 v68, v94, v10
	v_lshlrev_b16_e32 v10, 1, v68
	v_lshlrev_b32_e32 v26, 2, v10
	v_mul_u32_u24_sdwa v10, v96, s17 dst_sel:DWORD dst_unused:UNUSED_PAD src0_sel:WORD_0 src1_sel:DWORD
	v_lshrrev_b32_e32 v69, 19, v10
	v_mul_lo_u16_e32 v10, 10, v69
	v_sub_u16_e32 v70, v96, v10
	v_lshlrev_b16_e32 v10, 1, v70
	;; [unrolled: 6-line block ×4, first 2 shown]
	v_lshlrev_b32_e32 v34, 2, v10
	v_mul_u32_u24_sdwa v10, v102, s17 dst_sel:DWORD dst_unused:UNUSED_PAD src0_sel:WORD_0 src1_sel:DWORD
	v_lshrrev_b32_e32 v78, 19, v10
	v_mul_lo_u16_e32 v10, 10, v78
	v_add_f16_e32 v18, v23, v12
	v_sub_u16_e32 v79, v102, v10
	v_add_f16_e32 v18, v18, v13
	v_lshlrev_b16_e32 v10, 1, v79
	v_pack_b32_f16 v62, v18, v28
	v_lshlrev_b32_e32 v35, 2, v10
	global_load_dwordx2 v[30:31], v25, s[2:3]
	global_load_dwordx2 v[28:29], v26, s[2:3]
	;; [unrolled: 1-line block ×6, first 2 shown]
	ds_read2_b32 v[25:26], v0 offset0:162 offset1:243
	ds_read2_b32 v[32:33], v148 offset0:76 offset1:157
	;; [unrolled: 1-line block ×12, first 2 shown]
	s_waitcnt vmcnt(0) lgkmcnt(0)
	s_barrier
	ds_write2_b32 v155, v62, v64 offset1:10
	v_lshrrev_b32_e32 v62, 16, v14
	v_mul_f16_sdwa v64, v62, v8 dst_sel:DWORD dst_unused:UNUSED_PAD src0_sel:DWORD src1_sel:WORD_1
	v_fma_f16 v64, v14, v8, -v64
	v_mul_f16_sdwa v14, v14, v8 dst_sel:DWORD dst_unused:UNUSED_PAD src0_sel:DWORD src1_sel:WORD_1
	v_fma_f16 v14, v62, v8, v14
	v_lshrrev_b32_e32 v62, 16, v20
	v_mul_f16_sdwa v80, v62, v9 dst_sel:DWORD dst_unused:UNUSED_PAD src0_sel:DWORD src1_sel:WORD_1
	v_fma_f16 v80, v20, v9, -v80
	v_mul_f16_sdwa v20, v20, v9 dst_sel:DWORD dst_unused:UNUSED_PAD src0_sel:DWORD src1_sel:WORD_1
	v_fma_f16 v20, v62, v9, v20
	v_fma_f16 v60, v61, s0, v60
	v_add_f16_e32 v61, v64, v80
	v_lshrrev_b32_e32 v62, 16, v24
	v_fma_f16 v59, v59, s1, v63
	v_fma_f16 v61, v61, -0.5, v24
	v_add_f16_e32 v24, v24, v64
	v_add_f16_e32 v63, v62, v14
	v_sub_f16_e32 v81, v14, v20
	v_add_f16_e32 v14, v14, v20
	v_add_f16_e32 v63, v63, v20
	v_fma_f16 v14, v14, -0.5, v62
	v_add_f16_e32 v20, v24, v80
	v_sub_f16_e32 v24, v64, v80
	v_pack_b32_f16 v15, v20, v63
	v_fma_f16 v20, v81, s0, v61
	v_fma_f16 v21, v24, s1, v14
	v_pack_b32_f16 v59, v59, v60
	v_pack_b32_f16 v20, v20, v21
	ds_write_b32 v155, v59 offset:80
	ds_write2_b32 v156, v15, v20 offset1:10
	v_fma_f16 v14, v24, s0, v14
	v_lshrrev_b32_e32 v20, 16, v32
	v_mul_f16_sdwa v21, v32, v6 dst_sel:DWORD dst_unused:UNUSED_PAD src0_sel:DWORD src1_sel:WORD_1
	v_lshrrev_b32_e32 v24, 16, v34
	v_mul_f16_sdwa v59, v34, v7 dst_sel:DWORD dst_unused:UNUSED_PAD src0_sel:DWORD src1_sel:WORD_1
	v_fma_f16 v21, v20, v6, v21
	v_fma_f16 v59, v24, v7, v59
	v_mul_f16_sdwa v20, v20, v6 dst_sel:DWORD dst_unused:UNUSED_PAD src0_sel:DWORD src1_sel:WORD_1
	v_mul_f16_sdwa v24, v24, v7 dst_sel:DWORD dst_unused:UNUSED_PAD src0_sel:DWORD src1_sel:WORD_1
	v_lshrrev_b32_e32 v60, 16, v25
	v_fma_f16 v20, v32, v6, -v20
	v_fma_f16 v24, v34, v7, -v24
	v_fma_f16 v15, v81, s1, v61
	v_add_f16_e32 v61, v60, v21
	v_sub_f16_e32 v62, v21, v59
	v_add_f16_e32 v21, v21, v59
	v_add_f16_e32 v34, v20, v24
	v_fma_f16 v21, v21, -0.5, v60
	v_add_f16_e32 v32, v25, v20
	v_sub_f16_e32 v20, v20, v24
	v_pack_b32_f16 v14, v15, v14
	v_fma_f16 v15, v34, -0.5, v25
	v_add_f16_e32 v61, v61, v59
	v_add_f16_e32 v32, v32, v24
	ds_write_b32 v156, v14 offset:80
	v_mul_u32_u24_e32 v14, 30, v27
	v_fma_f16 v24, v62, s0, v15
	v_fma_f16 v25, v20, s1, v21
	v_add_lshl_u32 v157, v14, v51, 2
	v_pack_b32_f16 v14, v32, v61
	v_pack_b32_f16 v24, v24, v25
	ds_write2_b32 v157, v14, v24 offset1:10
	v_lshrrev_b32_e32 v14, 16, v33
	v_mul_f16_sdwa v25, v33, v4 dst_sel:DWORD dst_unused:UNUSED_PAD src0_sel:DWORD src1_sel:WORD_1
	v_mul_f16_sdwa v24, v14, v4 dst_sel:DWORD dst_unused:UNUSED_PAD src0_sel:DWORD src1_sel:WORD_1
	v_fma_f16 v14, v14, v4, v25
	v_lshrrev_b32_e32 v25, 16, v35
	v_mul_f16_sdwa v27, v25, v5 dst_sel:DWORD dst_unused:UNUSED_PAD src0_sel:DWORD src1_sel:WORD_1
	v_fma_f16 v24, v33, v4, -v24
	v_fma_f16 v27, v35, v5, -v27
	v_mul_f16_sdwa v32, v35, v5 dst_sel:DWORD dst_unused:UNUSED_PAD src0_sel:DWORD src1_sel:WORD_1
	v_fma_f16 v25, v25, v5, v32
	v_fma_f16 v20, v20, s0, v21
	v_add_f16_e32 v21, v24, v27
	v_lshrrev_b32_e32 v32, 16, v26
	v_fma_f16 v15, v62, s1, v15
	v_fma_f16 v21, v21, -0.5, v26
	v_add_f16_e32 v26, v26, v24
	v_add_f16_e32 v33, v32, v14
	v_sub_f16_e32 v34, v14, v25
	v_add_f16_e32 v14, v14, v25
	v_add_f16_e32 v33, v33, v25
	v_fma_f16 v14, v14, -0.5, v32
	v_add_f16_e32 v25, v26, v27
	v_sub_f16_e32 v24, v24, v27
	v_pack_b32_f16 v15, v15, v20
	ds_write_b32 v157, v15 offset:80
	v_mad_legacy_u16 v15, v57, 30, v58
	v_pack_b32_f16 v20, v25, v33
	v_fma_f16 v25, v34, s0, v21
	v_fma_f16 v26, v24, s1, v14
	v_pack_b32_f16 v25, v25, v26
	v_lshlrev_b32_e32 v158, 2, v15
	ds_write2_b32 v158, v20, v25 offset1:10
	v_fma_f16 v15, v34, s1, v21
	v_fma_f16 v14, v24, s0, v14
	v_lshrrev_b32_e32 v20, 16, v38
	v_mul_f16_sdwa v21, v38, v30 dst_sel:DWORD dst_unused:UNUSED_PAD src0_sel:DWORD src1_sel:WORD_1
	v_lshrrev_b32_e32 v24, 16, v41
	v_mul_f16_sdwa v25, v41, v31 dst_sel:DWORD dst_unused:UNUSED_PAD src0_sel:DWORD src1_sel:WORD_1
	v_fma_f16 v21, v20, v30, v21
	v_fma_f16 v25, v24, v31, v25
	v_lshrrev_b32_e32 v26, 16, v36
	v_mul_f16_sdwa v20, v20, v30 dst_sel:DWORD dst_unused:UNUSED_PAD src0_sel:DWORD src1_sel:WORD_1
	v_mul_f16_sdwa v24, v24, v31 dst_sel:DWORD dst_unused:UNUSED_PAD src0_sel:DWORD src1_sel:WORD_1
	v_add_f16_e32 v27, v26, v21
	v_sub_f16_e32 v32, v21, v25
	v_add_f16_e32 v21, v21, v25
	v_fma_f16 v20, v38, v30, -v20
	v_fma_f16 v24, v41, v31, -v24
	v_add_f16_e32 v27, v27, v25
	v_fma_f16 v21, v21, -0.5, v26
	v_add_f16_e32 v25, v36, v20
	v_add_f16_e32 v26, v20, v24
	;; [unrolled: 1-line block ×3, first 2 shown]
	v_sub_f16_e32 v20, v20, v24
	v_pack_b32_f16 v14, v15, v14
	v_fma_f16 v24, v26, -0.5, v36
	ds_write_b32 v158, v14 offset:80
	v_mad_legacy_u16 v14, v65, 30, v66
	v_pack_b32_f16 v15, v25, v27
	v_fma_f16 v25, v32, s0, v24
	v_fma_f16 v26, v20, s1, v21
	v_pack_b32_f16 v25, v25, v26
	v_lshlrev_b32_e32 v159, 2, v14
	ds_write2_b32 v159, v15, v25 offset1:10
	v_lshrrev_b32_e32 v14, 16, v39
	v_mul_f16_sdwa v25, v39, v28 dst_sel:DWORD dst_unused:UNUSED_PAD src0_sel:DWORD src1_sel:WORD_1
	v_mul_f16_sdwa v15, v14, v28 dst_sel:DWORD dst_unused:UNUSED_PAD src0_sel:DWORD src1_sel:WORD_1
	v_fma_f16 v14, v14, v28, v25
	v_lshrrev_b32_e32 v25, 16, v42
	v_mul_f16_sdwa v26, v25, v29 dst_sel:DWORD dst_unused:UNUSED_PAD src0_sel:DWORD src1_sel:WORD_1
	v_mul_f16_sdwa v27, v42, v29 dst_sel:DWORD dst_unused:UNUSED_PAD src0_sel:DWORD src1_sel:WORD_1
	v_fma_f16 v15, v39, v28, -v15
	v_fma_f16 v26, v42, v29, -v26
	v_fma_f16 v25, v25, v29, v27
	v_lshrrev_b32_e32 v27, 16, v37
	v_fma_f16 v24, v32, s1, v24
	v_fma_f16 v20, v20, s0, v21
	v_add_f16_e32 v21, v15, v26
	v_add_f16_e32 v32, v37, v15
	;; [unrolled: 1-line block ×3, first 2 shown]
	v_sub_f16_e32 v34, v14, v25
	v_add_f16_e32 v14, v14, v25
	v_fma_f16 v21, v21, -0.5, v37
	v_add_f16_e32 v33, v33, v25
	v_fma_f16 v14, v14, -0.5, v27
	v_add_f16_e32 v25, v32, v26
	v_sub_f16_e32 v15, v15, v26
	v_pack_b32_f16 v20, v24, v20
	ds_write_b32 v159, v20 offset:80
	v_mad_legacy_u16 v20, v67, 30, v68
	v_pack_b32_f16 v24, v25, v33
	v_fma_f16 v25, v34, s0, v21
	v_fma_f16 v26, v15, s1, v14
	v_pack_b32_f16 v25, v25, v26
	v_lshlrev_b32_e32 v160, 2, v20
	ds_write2_b32 v160, v24, v25 offset1:10
	v_fma_f16 v20, v34, s1, v21
	v_fma_f16 v14, v15, s0, v14
	v_lshrrev_b32_e32 v15, 16, v45
	v_mul_f16_sdwa v21, v45, v22 dst_sel:DWORD dst_unused:UNUSED_PAD src0_sel:DWORD src1_sel:WORD_1
	v_lshrrev_b32_e32 v24, 16, v47
	v_mul_f16_sdwa v25, v47, v23 dst_sel:DWORD dst_unused:UNUSED_PAD src0_sel:DWORD src1_sel:WORD_1
	v_fma_f16 v21, v15, v22, v21
	v_fma_f16 v25, v24, v23, v25
	v_lshrrev_b32_e32 v26, 16, v43
	v_mul_f16_sdwa v15, v15, v22 dst_sel:DWORD dst_unused:UNUSED_PAD src0_sel:DWORD src1_sel:WORD_1
	v_mul_f16_sdwa v24, v24, v23 dst_sel:DWORD dst_unused:UNUSED_PAD src0_sel:DWORD src1_sel:WORD_1
	v_add_f16_e32 v27, v26, v21
	v_sub_f16_e32 v32, v21, v25
	v_add_f16_e32 v21, v21, v25
	v_fma_f16 v15, v45, v22, -v15
	v_fma_f16 v24, v47, v23, -v24
	v_add_f16_e32 v27, v27, v25
	v_fma_f16 v21, v21, -0.5, v26
	v_add_f16_e32 v25, v43, v15
	v_add_f16_e32 v26, v15, v24
	;; [unrolled: 1-line block ×3, first 2 shown]
	v_sub_f16_e32 v15, v15, v24
	v_pack_b32_f16 v14, v20, v14
	v_fma_f16 v24, v26, -0.5, v43
	ds_write_b32 v160, v14 offset:80
	v_mad_legacy_u16 v14, v69, 30, v70
	v_pack_b32_f16 v20, v25, v27
	v_fma_f16 v25, v32, s0, v24
	v_fma_f16 v26, v15, s1, v21
	v_pack_b32_f16 v25, v25, v26
	v_lshlrev_b32_e32 v161, 2, v14
	ds_write2_b32 v161, v20, v25 offset1:10
	v_lshrrev_b32_e32 v14, 16, v46
	v_mul_f16_sdwa v25, v46, v18 dst_sel:DWORD dst_unused:UNUSED_PAD src0_sel:DWORD src1_sel:WORD_1
	v_mul_f16_sdwa v20, v14, v18 dst_sel:DWORD dst_unused:UNUSED_PAD src0_sel:DWORD src1_sel:WORD_1
	v_fma_f16 v14, v14, v18, v25
	v_lshrrev_b32_e32 v25, 16, v48
	v_mul_f16_sdwa v26, v25, v19 dst_sel:DWORD dst_unused:UNUSED_PAD src0_sel:DWORD src1_sel:WORD_1
	v_mul_f16_sdwa v27, v48, v19 dst_sel:DWORD dst_unused:UNUSED_PAD src0_sel:DWORD src1_sel:WORD_1
	v_fma_f16 v20, v46, v18, -v20
	v_fma_f16 v26, v48, v19, -v26
	v_fma_f16 v25, v25, v19, v27
	v_lshrrev_b32_e32 v27, 16, v44
	v_fma_f16 v24, v32, s1, v24
	v_fma_f16 v15, v15, s0, v21
	v_add_f16_e32 v21, v20, v26
	v_add_f16_e32 v32, v44, v20
	;; [unrolled: 1-line block ×3, first 2 shown]
	v_sub_f16_e32 v34, v14, v25
	v_add_f16_e32 v14, v14, v25
	v_fma_f16 v21, v21, -0.5, v44
	v_add_f16_e32 v33, v33, v25
	v_fma_f16 v14, v14, -0.5, v27
	v_add_f16_e32 v25, v32, v26
	v_sub_f16_e32 v20, v20, v26
	v_pack_b32_f16 v15, v24, v15
	ds_write_b32 v161, v15 offset:80
	v_mad_legacy_u16 v15, v71, 30, v75
	v_pack_b32_f16 v24, v25, v33
	v_fma_f16 v25, v34, s0, v21
	v_fma_f16 v26, v20, s1, v14
	v_pack_b32_f16 v25, v25, v26
	v_lshlrev_b32_e32 v162, 2, v15
	ds_write2_b32 v162, v24, v25 offset1:10
	v_fma_f16 v15, v34, s1, v21
	v_fma_f16 v14, v20, s0, v14
	v_lshrrev_b32_e32 v20, 16, v53
	v_mul_f16_sdwa v21, v53, v12 dst_sel:DWORD dst_unused:UNUSED_PAD src0_sel:DWORD src1_sel:WORD_1
	v_lshrrev_b32_e32 v24, 16, v55
	v_mul_f16_sdwa v25, v55, v13 dst_sel:DWORD dst_unused:UNUSED_PAD src0_sel:DWORD src1_sel:WORD_1
	v_fma_f16 v21, v20, v12, v21
	v_fma_f16 v25, v24, v13, v25
	v_lshrrev_b32_e32 v26, 16, v49
	v_mul_f16_sdwa v20, v20, v12 dst_sel:DWORD dst_unused:UNUSED_PAD src0_sel:DWORD src1_sel:WORD_1
	v_mul_f16_sdwa v24, v24, v13 dst_sel:DWORD dst_unused:UNUSED_PAD src0_sel:DWORD src1_sel:WORD_1
	v_add_f16_e32 v27, v26, v21
	v_sub_f16_e32 v32, v21, v25
	v_add_f16_e32 v21, v21, v25
	v_fma_f16 v20, v53, v12, -v20
	v_fma_f16 v24, v55, v13, -v24
	v_add_f16_e32 v27, v27, v25
	v_fma_f16 v21, v21, -0.5, v26
	v_add_f16_e32 v25, v49, v20
	v_add_f16_e32 v26, v20, v24
	;; [unrolled: 1-line block ×3, first 2 shown]
	v_sub_f16_e32 v20, v20, v24
	v_pack_b32_f16 v14, v15, v14
	v_fma_f16 v24, v26, -0.5, v49
	ds_write_b32 v162, v14 offset:80
	v_mad_legacy_u16 v14, v76, 30, v77
	v_pack_b32_f16 v15, v25, v27
	v_fma_f16 v25, v32, s0, v24
	v_fma_f16 v26, v20, s1, v21
	v_pack_b32_f16 v25, v25, v26
	v_lshlrev_b32_e32 v163, 2, v14
	ds_write2_b32 v163, v15, v25 offset1:10
	v_lshrrev_b32_e32 v14, 16, v54
	v_mul_f16_sdwa v25, v54, v10 dst_sel:DWORD dst_unused:UNUSED_PAD src0_sel:DWORD src1_sel:WORD_1
	v_mul_f16_sdwa v15, v14, v10 dst_sel:DWORD dst_unused:UNUSED_PAD src0_sel:DWORD src1_sel:WORD_1
	v_fma_f16 v14, v14, v10, v25
	v_lshrrev_b32_e32 v25, 16, v56
	v_mul_f16_sdwa v26, v25, v11 dst_sel:DWORD dst_unused:UNUSED_PAD src0_sel:DWORD src1_sel:WORD_1
	v_mul_f16_sdwa v27, v56, v11 dst_sel:DWORD dst_unused:UNUSED_PAD src0_sel:DWORD src1_sel:WORD_1
	v_fma_f16 v15, v54, v10, -v15
	v_fma_f16 v26, v56, v11, -v26
	v_fma_f16 v25, v25, v11, v27
	v_fma_f16 v24, v32, s1, v24
	;; [unrolled: 1-line block ×3, first 2 shown]
	v_lshrrev_b32_e32 v27, 16, v50
	v_add_f16_e32 v21, v15, v26
	v_add_f16_e32 v33, v27, v14
	v_sub_f16_e32 v34, v14, v25
	v_add_f16_e32 v14, v14, v25
	v_pack_b32_f16 v20, v24, v20
	v_fma_f16 v21, v21, -0.5, v50
	v_add_f16_e32 v32, v50, v15
	v_fma_f16 v14, v14, -0.5, v27
	v_sub_f16_e32 v15, v15, v26
	ds_write_b32 v163, v20 offset:80
	v_mad_legacy_u16 v20, v78, 30, v79
	v_add_f16_e32 v33, v33, v25
	v_add_f16_e32 v25, v32, v26
	v_fma_f16 v26, v15, s1, v14
	v_lshlrev_b32_e32 v164, 2, v20
	v_fma_f16 v20, v34, s1, v21
	v_fma_f16 v14, v15, s0, v14
	v_pack_b32_f16 v14, v20, v14
	s_movk_i32 s17, 0x89
	ds_write_b32 v164, v14 offset:80
	v_mul_lo_u16_sdwa v14, v142, s17 dst_sel:DWORD dst_unused:UNUSED_PAD src0_sel:BYTE_0 src1_sel:DWORD
	v_pack_b32_f16 v24, v25, v33
	v_fma_f16 v25, v34, s0, v21
	v_lshrrev_b16_e32 v34, 12, v14
	v_mul_lo_u16_e32 v14, 30, v34
	v_sub_u16_e32 v14, v142, v14
	v_and_b32_e32 v35, 0xff, v14
	v_pack_b32_f16 v25, v25, v26
	v_lshlrev_b32_e32 v14, 3, v35
	ds_write2_b32 v164, v24, v25 offset1:10
	s_waitcnt lgkmcnt(0)
	s_barrier
	global_load_dwordx2 v[20:21], v14, s[2:3] offset:80
	v_mul_lo_u16_sdwa v14, v52, s17 dst_sel:DWORD dst_unused:UNUSED_PAD src0_sel:BYTE_0 src1_sel:DWORD
	v_lshrrev_b16_e32 v41, 12, v14
	v_mul_lo_u16_e32 v14, 30, v41
	v_sub_u16_e32 v14, v52, v14
	v_and_b32_e32 v45, 0xff, v14
	v_mul_lo_u16_sdwa v14, v73, s17 dst_sel:DWORD dst_unused:UNUSED_PAD src0_sel:BYTE_0 src1_sel:DWORD
	v_lshrrev_b16_e32 v49, 12, v14
	v_mul_lo_u16_e32 v14, 30, v49
	v_sub_u16_e32 v14, v73, v14
	s_mov_b32 s17, 0x8889
	v_and_b32_e32 v71, 0xff, v14
	v_mul_u32_u24_sdwa v14, v72, s17 dst_sel:DWORD dst_unused:UNUSED_PAD src0_sel:WORD_0 src1_sel:DWORD
	v_lshrrev_b32_e32 v82, 20, v14
	v_mul_lo_u16_e32 v14, 30, v82
	v_sub_u16_e32 v83, v72, v14
	v_lshlrev_b16_e32 v14, 3, v83
	v_mov_b32_e32 v75, s3
	v_add_co_u32_e32 v32, vcc, s2, v14
	v_lshlrev_b32_e32 v36, 3, v45
	v_addc_co_u32_e32 v33, vcc, 0, v75, vcc
	v_lshlrev_b32_e32 v37, 3, v71
	ds_read2_b32 v[43:44], v130 offset0:42 offset1:123
	global_load_dwordx2 v[26:27], v36, s[2:3] offset:80
	global_load_dwordx2 v[14:15], v[32:33], off offset:80
	global_load_dwordx2 v[24:25], v37, s[2:3] offset:80
	ds_read2_b32 v[32:33], v145 offset0:84 offset1:165
	ds_read2_b32 v[47:48], v0 offset1:81
	v_mul_u32_u24_e32 v34, 0x5a, v34
	s_waitcnt lgkmcnt(2)
	v_lshrrev_b32_e32 v36, 16, v43
	v_add_lshl_u32 v165, v34, v35, 2
	s_waitcnt lgkmcnt(1)
	v_lshrrev_b32_e32 v38, 16, v32
	s_waitcnt lgkmcnt(0)
	v_lshrrev_b32_e32 v42, 16, v47
	s_waitcnt vmcnt(3)
	v_mul_f16_sdwa v37, v43, v20 dst_sel:DWORD dst_unused:UNUSED_PAD src0_sel:DWORD src1_sel:WORD_1
	v_mul_f16_sdwa v39, v32, v21 dst_sel:DWORD dst_unused:UNUSED_PAD src0_sel:DWORD src1_sel:WORD_1
	v_fma_f16 v37, v36, v20, v37
	v_fma_f16 v39, v38, v21, v39
	v_add_f16_e32 v46, v42, v37
	v_sub_f16_e32 v84, v37, v39
	v_add_f16_e32 v37, v37, v39
	v_fma_f16 v85, v37, -0.5, v42
	v_mul_f16_sdwa v36, v36, v20 dst_sel:DWORD dst_unused:UNUSED_PAD src0_sel:DWORD src1_sel:WORD_1
	v_mul_f16_sdwa v37, v38, v21 dst_sel:DWORD dst_unused:UNUSED_PAD src0_sel:DWORD src1_sel:WORD_1
	v_fma_f16 v36, v43, v20, -v36
	v_fma_f16 v32, v32, v21, -v37
	v_add_f16_e32 v37, v47, v36
	v_add_f16_e32 v38, v36, v32
	;; [unrolled: 1-line block ×3, first 2 shown]
	v_sub_f16_e32 v32, v36, v32
	v_fma_f16 v87, v38, -0.5, v47
	v_fma_f16 v34, v84, s0, v87
	v_fma_f16 v35, v32, s1, v85
	v_pack_b32_f16 v88, v34, v35
	v_mul_u32_u24_sdwa v34, v92, s17 dst_sel:DWORD dst_unused:UNUSED_PAD src0_sel:WORD_0 src1_sel:DWORD
	v_lshrrev_b32_e32 v89, 20, v34
	v_mul_lo_u16_e32 v34, 30, v89
	v_mul_u32_u24_sdwa v36, v94, s17 dst_sel:DWORD dst_unused:UNUSED_PAD src0_sel:WORD_0 src1_sel:DWORD
	v_sub_u16_e32 v90, v92, v34
	v_lshrrev_b32_e32 v91, 20, v36
	v_lshlrev_b16_e32 v34, 3, v90
	v_mul_lo_u16_e32 v36, 30, v91
	v_mul_u32_u24_sdwa v38, v96, s17 dst_sel:DWORD dst_unused:UNUSED_PAD src0_sel:WORD_0 src1_sel:DWORD
	v_add_co_u32_e32 v34, vcc, s2, v34
	v_sub_u16_e32 v93, v94, v36
	v_lshrrev_b32_e32 v95, 20, v38
	v_addc_co_u32_e32 v35, vcc, 0, v75, vcc
	v_lshlrev_b16_e32 v36, 3, v93
	v_mul_lo_u16_e32 v38, 30, v95
	v_mul_u32_u24_sdwa v42, v98, s17 dst_sel:DWORD dst_unused:UNUSED_PAD src0_sel:WORD_0 src1_sel:DWORD
	v_add_f16_e32 v46, v46, v39
	v_add_co_u32_e32 v36, vcc, s2, v36
	v_sub_u16_e32 v97, v96, v38
	v_lshrrev_b32_e32 v99, 20, v42
	v_pack_b32_f16 v86, v37, v46
	v_addc_co_u32_e32 v37, vcc, 0, v75, vcc
	v_lshlrev_b16_e32 v38, 3, v97
	v_mul_lo_u16_e32 v42, 30, v99
	v_add_co_u32_e32 v38, vcc, s2, v38
	v_sub_u16_e32 v101, v98, v42
	v_addc_co_u32_e32 v39, vcc, 0, v75, vcc
	v_lshlrev_b16_e32 v42, 3, v101
	v_add_co_u32_e32 v53, vcc, s2, v42
	v_addc_co_u32_e32 v54, vcc, 0, v75, vcc
	global_load_dwordx2 v[50:51], v[34:35], off offset:80
	global_load_dwordx2 v[46:47], v[36:37], off offset:80
	;; [unrolled: 1-line block ×3, first 2 shown]
	s_nop 0
	global_load_dwordx2 v[38:39], v[53:54], off offset:80
	v_mul_u32_u24_sdwa v34, v100, s17 dst_sel:DWORD dst_unused:UNUSED_PAD src0_sel:WORD_0 src1_sel:DWORD
	v_lshrrev_b32_e32 v103, 20, v34
	v_mul_lo_u16_e32 v34, 30, v103
	v_mul_u32_u24_sdwa v36, v102, s17 dst_sel:DWORD dst_unused:UNUSED_PAD src0_sel:WORD_0 src1_sel:DWORD
	v_sub_u16_e32 v173, v100, v34
	v_lshrrev_b32_e32 v174, 20, v36
	v_lshlrev_b16_e32 v34, 3, v173
	v_mul_lo_u16_e32 v36, 30, v174
	v_add_co_u32_e32 v34, vcc, s2, v34
	v_sub_u16_e32 v175, v102, v36
	v_addc_co_u32_e32 v35, vcc, 0, v75, vcc
	v_lshlrev_b16_e32 v36, 3, v175
	v_add_co_u32_e32 v53, vcc, s2, v36
	v_addc_co_u32_e32 v54, vcc, 0, v75, vcc
	global_load_dwordx2 v[36:37], v[34:35], off offset:80
	s_nop 0
	global_load_dwordx2 v[34:35], v[53:54], off offset:80
	ds_read2_b32 v[53:54], v0 offset0:162 offset1:243
	ds_read2_b32 v[55:56], v148 offset0:76 offset1:157
	;; [unrolled: 1-line block ×12, first 2 shown]
	s_waitcnt vmcnt(0) lgkmcnt(0)
	s_barrier
	ds_write2_b32 v165, v86, v88 offset1:30
	v_lshrrev_b32_e32 v86, 16, v44
	v_mul_f16_sdwa v88, v86, v26 dst_sel:DWORD dst_unused:UNUSED_PAD src0_sel:DWORD src1_sel:WORD_1
	v_fma_f16 v88, v44, v26, -v88
	v_mul_f16_sdwa v44, v44, v26 dst_sel:DWORD dst_unused:UNUSED_PAD src0_sel:DWORD src1_sel:WORD_1
	v_fma_f16 v44, v86, v26, v44
	v_lshrrev_b32_e32 v86, 16, v33
	v_mul_f16_sdwa v166, v86, v27 dst_sel:DWORD dst_unused:UNUSED_PAD src0_sel:DWORD src1_sel:WORD_1
	v_fma_f16 v166, v33, v27, -v166
	v_mul_f16_sdwa v33, v33, v27 dst_sel:DWORD dst_unused:UNUSED_PAD src0_sel:DWORD src1_sel:WORD_1
	v_fma_f16 v33, v86, v27, v33
	v_lshrrev_b32_e32 v86, 16, v48
	v_fma_f16 v84, v84, s1, v87
	v_fma_f16 v32, v32, s0, v85
	v_add_f16_e32 v85, v88, v166
	v_add_f16_e32 v87, v86, v44
	v_fma_f16 v85, v85, -0.5, v48
	v_add_f16_e32 v48, v48, v88
	v_add_f16_e32 v87, v87, v33
	v_sub_f16_e32 v167, v44, v33
	v_add_f16_e32 v33, v44, v33
	v_pack_b32_f16 v32, v84, v32
	v_fma_f16 v33, v33, -0.5, v86
	v_add_f16_e32 v44, v48, v166
	v_sub_f16_e32 v48, v88, v166
	ds_write_b32 v165, v32 offset:240
	v_mul_u32_u24_e32 v32, 0x5a, v41
	v_add_lshl_u32 v166, v32, v45, 2
	v_pack_b32_f16 v32, v44, v87
	v_fma_f16 v41, v167, s0, v85
	v_fma_f16 v44, v48, s1, v33
	v_pack_b32_f16 v41, v41, v44
	ds_write2_b32 v166, v32, v41 offset1:30
	v_fma_f16 v33, v48, s0, v33
	v_lshrrev_b32_e32 v41, 16, v55
	v_mul_f16_sdwa v44, v55, v24 dst_sel:DWORD dst_unused:UNUSED_PAD src0_sel:DWORD src1_sel:WORD_1
	v_lshrrev_b32_e32 v45, 16, v57
	v_mul_f16_sdwa v48, v57, v25 dst_sel:DWORD dst_unused:UNUSED_PAD src0_sel:DWORD src1_sel:WORD_1
	v_fma_f16 v44, v41, v24, v44
	v_fma_f16 v48, v45, v25, v48
	v_lshrrev_b32_e32 v84, 16, v53
	v_mul_f16_sdwa v41, v41, v24 dst_sel:DWORD dst_unused:UNUSED_PAD src0_sel:DWORD src1_sel:WORD_1
	v_mul_f16_sdwa v45, v45, v25 dst_sel:DWORD dst_unused:UNUSED_PAD src0_sel:DWORD src1_sel:WORD_1
	v_fma_f16 v32, v167, s1, v85
	v_add_f16_e32 v85, v84, v44
	v_fma_f16 v41, v55, v24, -v41
	v_fma_f16 v45, v57, v25, -v45
	v_add_f16_e32 v85, v85, v48
	v_sub_f16_e32 v86, v44, v48
	v_add_f16_e32 v44, v44, v48
	v_add_f16_e32 v48, v53, v41
	v_add_f16_e32 v55, v41, v45
	v_pack_b32_f16 v32, v32, v33
	v_fma_f16 v44, v44, -0.5, v84
	v_add_f16_e32 v48, v48, v45
	v_sub_f16_e32 v41, v41, v45
	ds_write_b32 v166, v32 offset:240
	v_mul_u32_u24_e32 v32, 0x5a, v49
	v_fma_f16 v33, v55, -0.5, v53
	v_add_lshl_u32 v167, v32, v71, 2
	v_pack_b32_f16 v32, v48, v85
	v_fma_f16 v45, v86, s0, v33
	v_fma_f16 v48, v41, s1, v44
	v_pack_b32_f16 v45, v45, v48
	ds_write2_b32 v167, v32, v45 offset1:30
	v_lshrrev_b32_e32 v32, 16, v56
	v_mul_f16_sdwa v48, v56, v14 dst_sel:DWORD dst_unused:UNUSED_PAD src0_sel:DWORD src1_sel:WORD_1
	v_mul_f16_sdwa v45, v32, v14 dst_sel:DWORD dst_unused:UNUSED_PAD src0_sel:DWORD src1_sel:WORD_1
	v_fma_f16 v32, v32, v14, v48
	v_lshrrev_b32_e32 v48, 16, v58
	v_mul_f16_sdwa v49, v48, v15 dst_sel:DWORD dst_unused:UNUSED_PAD src0_sel:DWORD src1_sel:WORD_1
	v_fma_f16 v45, v56, v14, -v45
	v_fma_f16 v49, v58, v15, -v49
	v_mul_f16_sdwa v53, v58, v15 dst_sel:DWORD dst_unused:UNUSED_PAD src0_sel:DWORD src1_sel:WORD_1
	v_fma_f16 v48, v48, v15, v53
	v_fma_f16 v41, v41, s0, v44
	v_add_f16_e32 v44, v45, v49
	v_lshrrev_b32_e32 v53, 16, v54
	v_fma_f16 v33, v86, s1, v33
	v_fma_f16 v44, v44, -0.5, v54
	v_add_f16_e32 v54, v54, v45
	v_add_f16_e32 v55, v53, v32
	v_sub_f16_e32 v56, v32, v48
	v_add_f16_e32 v32, v32, v48
	v_add_f16_e32 v55, v55, v48
	v_fma_f16 v32, v32, -0.5, v53
	v_add_f16_e32 v48, v54, v49
	v_sub_f16_e32 v45, v45, v49
	v_pack_b32_f16 v33, v33, v41
	s_movk_i32 s17, 0x5a
	ds_write_b32 v167, v33 offset:240
	v_mad_legacy_u16 v33, v82, s17, v83
	v_pack_b32_f16 v41, v48, v55
	v_fma_f16 v48, v56, s0, v44
	v_fma_f16 v49, v45, s1, v32
	v_pack_b32_f16 v48, v48, v49
	v_lshlrev_b32_e32 v168, 2, v33
	ds_write2_b32 v168, v41, v48 offset1:30
	v_fma_f16 v33, v56, s1, v44
	v_fma_f16 v32, v45, s0, v32
	v_lshrrev_b32_e32 v41, 16, v61
	v_mul_f16_sdwa v44, v61, v50 dst_sel:DWORD dst_unused:UNUSED_PAD src0_sel:DWORD src1_sel:WORD_1
	v_lshrrev_b32_e32 v45, 16, v63
	v_mul_f16_sdwa v48, v63, v51 dst_sel:DWORD dst_unused:UNUSED_PAD src0_sel:DWORD src1_sel:WORD_1
	v_fma_f16 v44, v41, v50, v44
	v_fma_f16 v48, v45, v51, v48
	v_lshrrev_b32_e32 v49, 16, v59
	v_mul_f16_sdwa v41, v41, v50 dst_sel:DWORD dst_unused:UNUSED_PAD src0_sel:DWORD src1_sel:WORD_1
	v_mul_f16_sdwa v45, v45, v51 dst_sel:DWORD dst_unused:UNUSED_PAD src0_sel:DWORD src1_sel:WORD_1
	v_add_f16_e32 v53, v49, v44
	v_sub_f16_e32 v54, v44, v48
	v_add_f16_e32 v44, v44, v48
	v_fma_f16 v41, v61, v50, -v41
	v_fma_f16 v45, v63, v51, -v45
	v_add_f16_e32 v53, v53, v48
	v_fma_f16 v44, v44, -0.5, v49
	v_add_f16_e32 v48, v59, v41
	v_add_f16_e32 v49, v41, v45
	;; [unrolled: 1-line block ×3, first 2 shown]
	v_sub_f16_e32 v41, v41, v45
	v_pack_b32_f16 v32, v33, v32
	v_fma_f16 v45, v49, -0.5, v59
	ds_write_b32 v168, v32 offset:240
	v_mad_legacy_u16 v32, v89, s17, v90
	v_pack_b32_f16 v33, v48, v53
	v_fma_f16 v48, v54, s0, v45
	v_fma_f16 v49, v41, s1, v44
	v_pack_b32_f16 v48, v48, v49
	v_lshlrev_b32_e32 v169, 2, v32
	ds_write2_b32 v169, v33, v48 offset1:30
	v_lshrrev_b32_e32 v32, 16, v62
	v_mul_f16_sdwa v48, v62, v46 dst_sel:DWORD dst_unused:UNUSED_PAD src0_sel:DWORD src1_sel:WORD_1
	v_mul_f16_sdwa v33, v32, v46 dst_sel:DWORD dst_unused:UNUSED_PAD src0_sel:DWORD src1_sel:WORD_1
	v_fma_f16 v32, v32, v46, v48
	v_lshrrev_b32_e32 v48, 16, v64
	v_mul_f16_sdwa v49, v48, v47 dst_sel:DWORD dst_unused:UNUSED_PAD src0_sel:DWORD src1_sel:WORD_1
	v_mul_f16_sdwa v53, v64, v47 dst_sel:DWORD dst_unused:UNUSED_PAD src0_sel:DWORD src1_sel:WORD_1
	v_fma_f16 v33, v62, v46, -v33
	v_fma_f16 v49, v64, v47, -v49
	v_fma_f16 v48, v48, v47, v53
	v_lshrrev_b32_e32 v53, 16, v60
	v_fma_f16 v45, v54, s1, v45
	v_fma_f16 v41, v41, s0, v44
	v_add_f16_e32 v44, v33, v49
	v_add_f16_e32 v54, v60, v33
	v_add_f16_e32 v55, v53, v32
	v_sub_f16_e32 v56, v32, v48
	v_add_f16_e32 v32, v32, v48
	v_fma_f16 v44, v44, -0.5, v60
	v_add_f16_e32 v55, v55, v48
	v_fma_f16 v32, v32, -0.5, v53
	v_add_f16_e32 v48, v54, v49
	v_sub_f16_e32 v33, v33, v49
	v_pack_b32_f16 v41, v45, v41
	ds_write_b32 v169, v41 offset:240
	v_mad_legacy_u16 v41, v91, s17, v93
	v_pack_b32_f16 v45, v48, v55
	v_fma_f16 v48, v56, s0, v44
	v_fma_f16 v49, v33, s1, v32
	v_pack_b32_f16 v48, v48, v49
	v_lshlrev_b32_e32 v170, 2, v41
	ds_write2_b32 v170, v45, v48 offset1:30
	v_fma_f16 v41, v56, s1, v44
	v_fma_f16 v32, v33, s0, v32
	v_lshrrev_b32_e32 v33, 16, v67
	v_mul_f16_sdwa v44, v67, v42 dst_sel:DWORD dst_unused:UNUSED_PAD src0_sel:DWORD src1_sel:WORD_1
	v_lshrrev_b32_e32 v45, 16, v69
	v_mul_f16_sdwa v48, v69, v43 dst_sel:DWORD dst_unused:UNUSED_PAD src0_sel:DWORD src1_sel:WORD_1
	v_fma_f16 v44, v33, v42, v44
	v_fma_f16 v48, v45, v43, v48
	v_lshrrev_b32_e32 v49, 16, v65
	v_mul_f16_sdwa v33, v33, v42 dst_sel:DWORD dst_unused:UNUSED_PAD src0_sel:DWORD src1_sel:WORD_1
	v_mul_f16_sdwa v45, v45, v43 dst_sel:DWORD dst_unused:UNUSED_PAD src0_sel:DWORD src1_sel:WORD_1
	v_add_f16_e32 v53, v49, v44
	v_sub_f16_e32 v54, v44, v48
	v_add_f16_e32 v44, v44, v48
	v_fma_f16 v33, v67, v42, -v33
	v_fma_f16 v45, v69, v43, -v45
	v_add_f16_e32 v53, v53, v48
	v_fma_f16 v44, v44, -0.5, v49
	v_add_f16_e32 v48, v65, v33
	v_add_f16_e32 v49, v33, v45
	;; [unrolled: 1-line block ×3, first 2 shown]
	v_sub_f16_e32 v33, v33, v45
	v_pack_b32_f16 v32, v41, v32
	v_fma_f16 v45, v49, -0.5, v65
	ds_write_b32 v170, v32 offset:240
	v_mad_legacy_u16 v32, v95, s17, v97
	v_pack_b32_f16 v41, v48, v53
	v_fma_f16 v48, v54, s0, v45
	v_fma_f16 v49, v33, s1, v44
	v_pack_b32_f16 v48, v48, v49
	v_lshlrev_b32_e32 v171, 2, v32
	ds_write2_b32 v171, v41, v48 offset1:30
	v_lshrrev_b32_e32 v32, 16, v68
	v_mul_f16_sdwa v48, v68, v38 dst_sel:DWORD dst_unused:UNUSED_PAD src0_sel:DWORD src1_sel:WORD_1
	v_mul_f16_sdwa v41, v32, v38 dst_sel:DWORD dst_unused:UNUSED_PAD src0_sel:DWORD src1_sel:WORD_1
	v_fma_f16 v32, v32, v38, v48
	v_lshrrev_b32_e32 v48, 16, v70
	v_mul_f16_sdwa v49, v48, v39 dst_sel:DWORD dst_unused:UNUSED_PAD src0_sel:DWORD src1_sel:WORD_1
	v_mul_f16_sdwa v53, v70, v39 dst_sel:DWORD dst_unused:UNUSED_PAD src0_sel:DWORD src1_sel:WORD_1
	v_fma_f16 v41, v68, v38, -v41
	v_fma_f16 v49, v70, v39, -v49
	v_fma_f16 v48, v48, v39, v53
	v_lshrrev_b32_e32 v53, 16, v66
	v_fma_f16 v45, v54, s1, v45
	v_fma_f16 v33, v33, s0, v44
	v_add_f16_e32 v44, v41, v49
	v_add_f16_e32 v54, v66, v41
	v_add_f16_e32 v55, v53, v32
	v_sub_f16_e32 v56, v32, v48
	v_add_f16_e32 v32, v32, v48
	v_fma_f16 v44, v44, -0.5, v66
	v_add_f16_e32 v55, v55, v48
	v_fma_f16 v32, v32, -0.5, v53
	v_add_f16_e32 v48, v54, v49
	v_sub_f16_e32 v41, v41, v49
	v_pack_b32_f16 v33, v45, v33
	ds_write_b32 v171, v33 offset:240
	v_mad_legacy_u16 v33, v99, s17, v101
	v_pack_b32_f16 v45, v48, v55
	v_fma_f16 v48, v56, s0, v44
	v_fma_f16 v49, v41, s1, v32
	v_pack_b32_f16 v48, v48, v49
	v_lshlrev_b32_e32 v172, 2, v33
	ds_write2_b32 v172, v45, v48 offset1:30
	v_fma_f16 v33, v56, s1, v44
	v_fma_f16 v32, v41, s0, v32
	v_lshrrev_b32_e32 v41, 16, v78
	v_mul_f16_sdwa v44, v78, v36 dst_sel:DWORD dst_unused:UNUSED_PAD src0_sel:DWORD src1_sel:WORD_1
	v_lshrrev_b32_e32 v45, 16, v80
	v_mul_f16_sdwa v48, v80, v37 dst_sel:DWORD dst_unused:UNUSED_PAD src0_sel:DWORD src1_sel:WORD_1
	v_fma_f16 v44, v41, v36, v44
	v_fma_f16 v48, v45, v37, v48
	v_lshrrev_b32_e32 v49, 16, v76
	v_mul_f16_sdwa v41, v41, v36 dst_sel:DWORD dst_unused:UNUSED_PAD src0_sel:DWORD src1_sel:WORD_1
	v_mul_f16_sdwa v45, v45, v37 dst_sel:DWORD dst_unused:UNUSED_PAD src0_sel:DWORD src1_sel:WORD_1
	v_add_f16_e32 v53, v49, v44
	v_sub_f16_e32 v54, v44, v48
	v_add_f16_e32 v44, v44, v48
	v_fma_f16 v41, v78, v36, -v41
	v_fma_f16 v45, v80, v37, -v45
	v_add_f16_e32 v53, v53, v48
	v_fma_f16 v44, v44, -0.5, v49
	v_add_f16_e32 v48, v76, v41
	v_add_f16_e32 v49, v41, v45
	v_add_f16_e32 v48, v48, v45
	v_sub_f16_e32 v41, v41, v45
	v_pack_b32_f16 v32, v33, v32
	v_fma_f16 v45, v49, -0.5, v76
	ds_write_b32 v172, v32 offset:240
	v_mad_legacy_u16 v32, v103, s17, v173
	v_pack_b32_f16 v33, v48, v53
	v_fma_f16 v48, v54, s0, v45
	v_fma_f16 v49, v41, s1, v44
	v_pack_b32_f16 v48, v48, v49
	v_lshlrev_b32_e32 v173, 2, v32
	ds_write2_b32 v173, v33, v48 offset1:30
	v_lshrrev_b32_e32 v32, 16, v79
	v_mul_f16_sdwa v48, v79, v34 dst_sel:DWORD dst_unused:UNUSED_PAD src0_sel:DWORD src1_sel:WORD_1
	v_mul_f16_sdwa v33, v32, v34 dst_sel:DWORD dst_unused:UNUSED_PAD src0_sel:DWORD src1_sel:WORD_1
	v_fma_f16 v32, v32, v34, v48
	v_lshrrev_b32_e32 v48, 16, v81
	v_mul_f16_sdwa v49, v48, v35 dst_sel:DWORD dst_unused:UNUSED_PAD src0_sel:DWORD src1_sel:WORD_1
	v_mul_f16_sdwa v53, v81, v35 dst_sel:DWORD dst_unused:UNUSED_PAD src0_sel:DWORD src1_sel:WORD_1
	v_fma_f16 v33, v79, v34, -v33
	v_fma_f16 v49, v81, v35, -v49
	v_fma_f16 v48, v48, v35, v53
	v_fma_f16 v45, v54, s1, v45
	;; [unrolled: 1-line block ×3, first 2 shown]
	v_lshrrev_b32_e32 v53, 16, v77
	v_add_f16_e32 v44, v33, v49
	v_add_f16_e32 v55, v53, v32
	v_sub_f16_e32 v56, v32, v48
	v_add_f16_e32 v32, v32, v48
	v_pack_b32_f16 v41, v45, v41
	v_fma_f16 v44, v44, -0.5, v77
	v_add_f16_e32 v54, v77, v33
	v_fma_f16 v32, v32, -0.5, v53
	v_sub_f16_e32 v33, v33, v49
	ds_write_b32 v173, v41 offset:240
	v_mad_legacy_u16 v41, v174, s17, v175
	v_add_f16_e32 v55, v55, v48
	v_add_f16_e32 v48, v54, v49
	v_fma_f16 v49, v33, s1, v32
	v_lshlrev_b32_e32 v174, 2, v41
	v_fma_f16 v41, v56, s1, v44
	v_fma_f16 v32, v33, s0, v32
	v_pack_b32_f16 v32, v41, v32
	s_movk_i32 s17, 0xb7
	ds_write_b32 v174, v32 offset:240
	v_mul_lo_u16_sdwa v32, v73, s17 dst_sel:DWORD dst_unused:UNUSED_PAD src0_sel:BYTE_0 src1_sel:DWORD
	v_lshrrev_b16_e32 v65, 14, v32
	v_mul_lo_u16_e32 v32, 0x5a, v65
	v_sub_u16_e32 v32, v73, v32
	v_pack_b32_f16 v45, v48, v55
	v_fma_f16 v48, v56, s0, v44
	v_and_b32_e32 v91, 0xff, v32
	v_pack_b32_f16 v48, v48, v49
	v_lshlrev_b32_e32 v32, 3, v91
	v_lshlrev_b32_e32 v76, 3, v142
	ds_write2_b32 v174, v45, v48 offset1:30
	s_waitcnt lgkmcnt(0)
	s_barrier
	global_load_dwordx2 v[32:33], v32, s[2:3] offset:320
	v_add_co_u32_e32 v41, vcc, -9, v142
	global_load_dwordx2 v[48:49], v76, s[2:3] offset:320
	v_addc_co_u32_e64 v44, s[18:19], 0, -1, vcc
	v_cmp_gt_u16_e32 vcc, 9, v142
	v_cndmask_b32_e32 v54, v44, v40, vcc
	v_cndmask_b32_e32 v53, v41, v52, vcc
	v_lshlrev_b64 v[40:41], 3, v[53:54]
	ds_read2_b32 v[54:55], v130 offset0:42 offset1:123
	v_add_co_u32_e32 v40, vcc, s2, v40
	v_addc_co_u32_e32 v41, vcc, v75, v41, vcc
	global_load_dwordx2 v[44:45], v[40:41], off offset:320
	ds_read2_b32 v[57:58], v145 offset0:84 offset1:165
	ds_read2_b32 v[63:64], v0 offset1:81
	s_movk_i32 s17, 0x2d83
	v_mul_u32_u24_sdwa v40, v72, s17 dst_sel:DWORD dst_unused:UNUSED_PAD src0_sel:WORD_0 src1_sel:DWORD
	s_waitcnt lgkmcnt(2)
	v_lshrrev_b32_e32 v56, 16, v54
	v_lshrrev_b32_e32 v93, 20, v40
	s_waitcnt lgkmcnt(1)
	v_lshrrev_b32_e32 v60, 16, v57
	v_mul_lo_u16_e32 v40, 0x5a, v93
	s_waitcnt lgkmcnt(0)
	v_lshrrev_b32_e32 v62, 16, v63
	v_sub_u16_e32 v95, v72, v40
	v_lshlrev_b16_e32 v40, 3, v95
	v_add_co_u32_e32 v40, vcc, s2, v40
	v_addc_co_u32_e32 v41, vcc, 0, v75, vcc
	global_load_dwordx2 v[40:41], v[40:41], off offset:320
	v_lshlrev_b32_e32 v73, 3, v73
	s_waitcnt vmcnt(2)
	v_mul_f16_sdwa v59, v54, v48 dst_sel:DWORD dst_unused:UNUSED_PAD src0_sel:DWORD src1_sel:WORD_1
	v_fma_f16 v59, v56, v48, v59
	v_mul_f16_sdwa v61, v57, v49 dst_sel:DWORD dst_unused:UNUSED_PAD src0_sel:DWORD src1_sel:WORD_1
	v_mul_f16_sdwa v56, v56, v48 dst_sel:DWORD dst_unused:UNUSED_PAD src0_sel:DWORD src1_sel:WORD_1
	v_fma_f16 v61, v60, v49, v61
	v_fma_f16 v54, v54, v48, -v56
	v_mul_f16_sdwa v56, v60, v49 dst_sel:DWORD dst_unused:UNUSED_PAD src0_sel:DWORD src1_sel:WORD_1
	v_add_f16_e32 v66, v62, v59
	v_sub_f16_e32 v97, v59, v61
	v_add_f16_e32 v59, v59, v61
	v_fma_f16 v56, v57, v49, -v56
	v_fma_f16 v99, v59, -0.5, v62
	v_add_f16_e32 v57, v63, v54
	v_add_f16_e32 v59, v54, v56
	v_add_f16_e32 v66, v66, v61
	v_add_f16_e32 v57, v57, v56
	v_sub_f16_e32 v54, v54, v56
	v_fma_f16 v103, v59, -0.5, v63
	v_pack_b32_f16 v101, v57, v66
	v_fma_f16 v56, v97, s0, v103
	v_fma_f16 v57, v54, s1, v99
	v_pack_b32_f16 v175, v56, v57
	v_mul_u32_u24_sdwa v56, v92, s17 dst_sel:DWORD dst_unused:UNUSED_PAD src0_sel:WORD_0 src1_sel:DWORD
	v_lshrrev_b32_e32 v178, 20, v56
	v_mul_lo_u16_e32 v56, 0x5a, v178
	v_mul_u32_u24_sdwa v59, v94, s17 dst_sel:DWORD dst_unused:UNUSED_PAD src0_sel:WORD_0 src1_sel:DWORD
	v_sub_u16_e32 v179, v92, v56
	v_lshrrev_b32_e32 v190, 20, v59
	v_lshlrev_b16_e32 v56, 3, v179
	v_mul_lo_u16_e32 v59, 0x5a, v190
	v_mul_u32_u24_sdwa v61, v96, s17 dst_sel:DWORD dst_unused:UNUSED_PAD src0_sel:WORD_0 src1_sel:DWORD
	v_add_co_u32_e32 v56, vcc, s2, v56
	v_sub_u16_e32 v191, v94, v59
	v_lshrrev_b32_e32 v192, 20, v61
	v_addc_co_u32_e32 v57, vcc, 0, v75, vcc
	v_lshlrev_b16_e32 v59, 3, v191
	v_mul_lo_u16_e32 v61, 0x5a, v192
	v_mul_u32_u24_sdwa v63, v98, s17 dst_sel:DWORD dst_unused:UNUSED_PAD src0_sel:WORD_0 src1_sel:DWORD
	v_add_co_u32_e32 v59, vcc, s2, v59
	v_sub_u16_e32 v193, v96, v61
	v_lshrrev_b32_e32 v194, 20, v63
	v_addc_co_u32_e32 v60, vcc, 0, v75, vcc
	v_lshlrev_b16_e32 v61, 3, v193
	v_mul_lo_u16_e32 v63, 0x5a, v194
	v_add_co_u32_e32 v61, vcc, s2, v61
	v_sub_u16_e32 v195, v98, v63
	v_addc_co_u32_e32 v62, vcc, 0, v75, vcc
	v_lshlrev_b16_e32 v63, 3, v195
	v_add_co_u32_e32 v77, vcc, s2, v63
	v_addc_co_u32_e32 v78, vcc, 0, v75, vcc
	global_load_dwordx2 v[70:71], v[56:57], off offset:320
	global_load_dwordx2 v[68:69], v[59:60], off offset:320
	;; [unrolled: 1-line block ×3, first 2 shown]
	s_nop 0
	global_load_dwordx2 v[62:63], v[77:78], off offset:320
	v_mul_u32_u24_sdwa v56, v100, s17 dst_sel:DWORD dst_unused:UNUSED_PAD src0_sel:WORD_0 src1_sel:DWORD
	v_lshrrev_b32_e32 v59, 20, v56
	v_mul_lo_u16_e32 v56, 0x5a, v59
	v_mul_u32_u24_sdwa v60, v102, s17 dst_sel:DWORD dst_unused:UNUSED_PAD src0_sel:WORD_0 src1_sel:DWORD
	v_sub_u16_e32 v196, v100, v56
	v_lshrrev_b32_e32 v60, 20, v60
	v_lshlrev_b16_e32 v56, 3, v196
	v_mul_lo_u16_e32 v60, 0x5a, v60
	v_add_co_u32_e32 v56, vcc, s2, v56
	v_sub_u16_e32 v197, v102, v60
	v_addc_co_u32_e32 v57, vcc, 0, v75, vcc
	v_lshlrev_b16_e32 v60, 3, v197
	v_add_co_u32_e32 v77, vcc, s2, v60
	v_addc_co_u32_e32 v78, vcc, 0, v75, vcc
	global_load_dwordx2 v[60:61], v[56:57], off offset:320
	s_nop 0
	global_load_dwordx2 v[56:57], v[77:78], off offset:320
	ds_read2_b32 v[77:78], v0 offset0:162 offset1:243
	ds_read2_b32 v[79:80], v148 offset0:76 offset1:157
	ds_read2_b32 v[81:82], v126 offset0:118 offset1:199
	ds_read2_b32 v[83:84], v133 offset0:68 offset1:149
	ds_read2_b32 v[85:86], v147 offset0:110 offset1:191
	ds_read2_b32 v[87:88], v143 offset0:152 offset1:233
	ds_read2_b32 v[89:90], v150 offset0:102 offset1:183
	ds_read2_b32 v[180:181], v129 offset0:16 offset1:97
	ds_read2_b32 v[182:183], v140 offset0:58 offset1:139
	ds_read2_b32 v[184:185], v149 offset0:136 offset1:217
	ds_read2_b32 v[186:187], v146 offset0:50 offset1:131
	ds_read2_b32 v[188:189], v121 offset0:92 offset1:173
	s_waitcnt vmcnt(0) lgkmcnt(0)
	s_barrier
	ds_write2_b32 v0, v101, v175 offset1:90
	v_mov_b32_e32 v101, 0x10e
	v_cmp_lt_u16_e32 vcc, 8, v142
	v_cndmask_b32_e32 v101, 0, v101, vcc
	v_add_lshl_u32 v175, v53, v101, 2
	v_lshrrev_b32_e32 v53, 16, v55
	v_mul_f16_sdwa v101, v53, v44 dst_sel:DWORD dst_unused:UNUSED_PAD src0_sel:DWORD src1_sel:WORD_1
	v_fma_f16 v101, v55, v44, -v101
	v_mul_f16_sdwa v55, v55, v44 dst_sel:DWORD dst_unused:UNUSED_PAD src0_sel:DWORD src1_sel:WORD_1
	v_fma_f16 v53, v53, v44, v55
	v_lshrrev_b32_e32 v55, 16, v58
	v_mul_f16_sdwa v176, v55, v45 dst_sel:DWORD dst_unused:UNUSED_PAD src0_sel:DWORD src1_sel:WORD_1
	v_fma_f16 v176, v58, v45, -v176
	v_mul_f16_sdwa v58, v58, v45 dst_sel:DWORD dst_unused:UNUSED_PAD src0_sel:DWORD src1_sel:WORD_1
	v_fma_f16 v55, v55, v45, v58
	v_fma_f16 v58, v97, s1, v103
	;; [unrolled: 1-line block ×3, first 2 shown]
	v_add_f16_e32 v97, v101, v176
	v_lshrrev_b32_e32 v99, 16, v64
	v_fma_f16 v97, v97, -0.5, v64
	v_add_f16_e32 v64, v64, v101
	v_add_f16_e32 v103, v99, v53
	v_sub_f16_e32 v177, v53, v55
	v_add_f16_e32 v53, v53, v55
	v_add_f16_e32 v103, v103, v55
	v_fma_f16 v53, v53, -0.5, v99
	v_add_f16_e32 v55, v64, v176
	v_sub_f16_e32 v64, v101, v176
	v_pack_b32_f16 v54, v58, v54
	ds_write_b32 v0, v54 offset:720
	v_pack_b32_f16 v54, v55, v103
	v_fma_f16 v55, v177, s0, v97
	v_fma_f16 v58, v64, s1, v53
	v_pack_b32_f16 v55, v55, v58
	ds_write2_b32 v175, v54, v55 offset1:90
	v_fma_f16 v54, v177, s1, v97
	v_fma_f16 v53, v64, s0, v53
	v_lshrrev_b32_e32 v55, 16, v79
	v_mul_f16_sdwa v58, v79, v32 dst_sel:DWORD dst_unused:UNUSED_PAD src0_sel:DWORD src1_sel:WORD_1
	v_lshrrev_b32_e32 v64, 16, v81
	v_mul_f16_sdwa v97, v81, v33 dst_sel:DWORD dst_unused:UNUSED_PAD src0_sel:DWORD src1_sel:WORD_1
	v_fma_f16 v58, v55, v32, v58
	v_fma_f16 v97, v64, v33, v97
	v_mul_f16_sdwa v55, v55, v32 dst_sel:DWORD dst_unused:UNUSED_PAD src0_sel:DWORD src1_sel:WORD_1
	v_mul_f16_sdwa v64, v64, v33 dst_sel:DWORD dst_unused:UNUSED_PAD src0_sel:DWORD src1_sel:WORD_1
	v_lshrrev_b32_e32 v99, 16, v77
	v_fma_f16 v55, v79, v32, -v55
	v_fma_f16 v64, v81, v33, -v64
	v_add_f16_e32 v101, v99, v58
	v_sub_f16_e32 v103, v58, v97
	v_add_f16_e32 v58, v58, v97
	v_add_f16_e32 v81, v55, v64
	v_fma_f16 v58, v58, -0.5, v99
	v_add_f16_e32 v79, v77, v55
	v_sub_f16_e32 v55, v55, v64
	v_pack_b32_f16 v53, v54, v53
	v_fma_f16 v54, v81, -0.5, v77
	v_add_f16_e32 v101, v101, v97
	v_add_f16_e32 v79, v79, v64
	ds_write_b32 v175, v53 offset:720
	v_mul_u32_u24_e32 v53, 0x10e, v65
	v_fma_f16 v64, v103, s0, v54
	v_fma_f16 v65, v55, s1, v58
	v_add_lshl_u32 v176, v53, v91, 2
	v_pack_b32_f16 v53, v79, v101
	v_pack_b32_f16 v64, v64, v65
	ds_write2_b32 v176, v53, v64 offset1:90
	v_lshrrev_b32_e32 v53, 16, v80
	v_mul_f16_sdwa v65, v80, v40 dst_sel:DWORD dst_unused:UNUSED_PAD src0_sel:DWORD src1_sel:WORD_1
	v_mul_f16_sdwa v64, v53, v40 dst_sel:DWORD dst_unused:UNUSED_PAD src0_sel:DWORD src1_sel:WORD_1
	v_fma_f16 v53, v53, v40, v65
	v_lshrrev_b32_e32 v65, 16, v82
	v_mul_f16_sdwa v77, v65, v41 dst_sel:DWORD dst_unused:UNUSED_PAD src0_sel:DWORD src1_sel:WORD_1
	v_fma_f16 v64, v80, v40, -v64
	v_fma_f16 v77, v82, v41, -v77
	v_mul_f16_sdwa v79, v82, v41 dst_sel:DWORD dst_unused:UNUSED_PAD src0_sel:DWORD src1_sel:WORD_1
	v_fma_f16 v65, v65, v41, v79
	v_fma_f16 v55, v55, s0, v58
	v_add_f16_e32 v58, v64, v77
	v_lshrrev_b32_e32 v79, 16, v78
	v_fma_f16 v54, v103, s1, v54
	v_fma_f16 v58, v58, -0.5, v78
	v_add_f16_e32 v78, v78, v64
	v_add_f16_e32 v80, v79, v53
	v_sub_f16_e32 v81, v53, v65
	v_add_f16_e32 v53, v53, v65
	v_add_f16_e32 v80, v80, v65
	v_fma_f16 v53, v53, -0.5, v79
	v_add_f16_e32 v65, v78, v77
	v_sub_f16_e32 v64, v64, v77
	v_pack_b32_f16 v54, v54, v55
	s_movk_i32 s17, 0x10e
	ds_write_b32 v176, v54 offset:720
	v_mad_legacy_u16 v54, v93, s17, v95
	v_pack_b32_f16 v55, v65, v80
	v_fma_f16 v65, v81, s0, v58
	v_fma_f16 v77, v64, s1, v53
	v_pack_b32_f16 v65, v65, v77
	v_lshlrev_b32_e32 v177, 2, v54
	ds_write2_b32 v177, v55, v65 offset1:90
	v_fma_f16 v54, v81, s1, v58
	v_fma_f16 v53, v64, s0, v53
	v_lshrrev_b32_e32 v55, 16, v85
	v_mul_f16_sdwa v58, v85, v70 dst_sel:DWORD dst_unused:UNUSED_PAD src0_sel:DWORD src1_sel:WORD_1
	v_lshrrev_b32_e32 v64, 16, v87
	v_mul_f16_sdwa v65, v87, v71 dst_sel:DWORD dst_unused:UNUSED_PAD src0_sel:DWORD src1_sel:WORD_1
	v_fma_f16 v58, v55, v70, v58
	v_fma_f16 v65, v64, v71, v65
	v_lshrrev_b32_e32 v77, 16, v83
	v_mul_f16_sdwa v55, v55, v70 dst_sel:DWORD dst_unused:UNUSED_PAD src0_sel:DWORD src1_sel:WORD_1
	v_mul_f16_sdwa v64, v64, v71 dst_sel:DWORD dst_unused:UNUSED_PAD src0_sel:DWORD src1_sel:WORD_1
	v_add_f16_e32 v78, v77, v58
	v_sub_f16_e32 v79, v58, v65
	v_add_f16_e32 v58, v58, v65
	v_fma_f16 v55, v85, v70, -v55
	v_fma_f16 v64, v87, v71, -v64
	v_add_f16_e32 v78, v78, v65
	v_fma_f16 v58, v58, -0.5, v77
	v_add_f16_e32 v65, v83, v55
	v_add_f16_e32 v77, v55, v64
	;; [unrolled: 1-line block ×3, first 2 shown]
	v_sub_f16_e32 v55, v55, v64
	v_pack_b32_f16 v53, v54, v53
	v_fma_f16 v64, v77, -0.5, v83
	ds_write_b32 v177, v53 offset:720
	v_mad_legacy_u16 v53, v178, s17, v179
	v_pack_b32_f16 v54, v65, v78
	v_fma_f16 v65, v79, s0, v64
	v_fma_f16 v77, v55, s1, v58
	v_pack_b32_f16 v65, v65, v77
	v_lshlrev_b32_e32 v178, 2, v53
	ds_write2_b32 v178, v54, v65 offset1:90
	v_lshrrev_b32_e32 v53, 16, v86
	v_mul_f16_sdwa v65, v86, v68 dst_sel:DWORD dst_unused:UNUSED_PAD src0_sel:DWORD src1_sel:WORD_1
	v_mul_f16_sdwa v54, v53, v68 dst_sel:DWORD dst_unused:UNUSED_PAD src0_sel:DWORD src1_sel:WORD_1
	v_fma_f16 v53, v53, v68, v65
	v_lshrrev_b32_e32 v65, 16, v88
	v_mul_f16_sdwa v77, v65, v69 dst_sel:DWORD dst_unused:UNUSED_PAD src0_sel:DWORD src1_sel:WORD_1
	v_mul_f16_sdwa v78, v88, v69 dst_sel:DWORD dst_unused:UNUSED_PAD src0_sel:DWORD src1_sel:WORD_1
	v_fma_f16 v54, v86, v68, -v54
	v_fma_f16 v77, v88, v69, -v77
	v_fma_f16 v65, v65, v69, v78
	v_lshrrev_b32_e32 v78, 16, v84
	v_fma_f16 v64, v79, s1, v64
	v_fma_f16 v55, v55, s0, v58
	v_add_f16_e32 v58, v54, v77
	v_add_f16_e32 v79, v84, v54
	;; [unrolled: 1-line block ×3, first 2 shown]
	v_sub_f16_e32 v81, v53, v65
	v_add_f16_e32 v53, v53, v65
	v_fma_f16 v58, v58, -0.5, v84
	v_add_f16_e32 v80, v80, v65
	v_fma_f16 v53, v53, -0.5, v78
	v_add_f16_e32 v65, v79, v77
	v_sub_f16_e32 v54, v54, v77
	v_pack_b32_f16 v55, v64, v55
	ds_write_b32 v178, v55 offset:720
	v_mad_legacy_u16 v55, v190, s17, v191
	v_pack_b32_f16 v64, v65, v80
	v_fma_f16 v65, v81, s0, v58
	v_fma_f16 v77, v54, s1, v53
	v_pack_b32_f16 v65, v65, v77
	v_lshlrev_b32_e32 v179, 2, v55
	ds_write2_b32 v179, v64, v65 offset1:90
	v_fma_f16 v55, v81, s1, v58
	v_fma_f16 v53, v54, s0, v53
	v_lshrrev_b32_e32 v54, 16, v180
	v_mul_f16_sdwa v58, v180, v66 dst_sel:DWORD dst_unused:UNUSED_PAD src0_sel:DWORD src1_sel:WORD_1
	v_lshrrev_b32_e32 v64, 16, v182
	v_mul_f16_sdwa v65, v182, v67 dst_sel:DWORD dst_unused:UNUSED_PAD src0_sel:DWORD src1_sel:WORD_1
	v_fma_f16 v58, v54, v66, v58
	v_fma_f16 v65, v64, v67, v65
	v_lshrrev_b32_e32 v77, 16, v89
	v_mul_f16_sdwa v54, v54, v66 dst_sel:DWORD dst_unused:UNUSED_PAD src0_sel:DWORD src1_sel:WORD_1
	v_mul_f16_sdwa v64, v64, v67 dst_sel:DWORD dst_unused:UNUSED_PAD src0_sel:DWORD src1_sel:WORD_1
	v_add_f16_e32 v78, v77, v58
	v_sub_f16_e32 v79, v58, v65
	v_add_f16_e32 v58, v58, v65
	v_fma_f16 v54, v180, v66, -v54
	v_fma_f16 v64, v182, v67, -v64
	v_add_f16_e32 v78, v78, v65
	v_fma_f16 v58, v58, -0.5, v77
	v_add_f16_e32 v65, v89, v54
	v_add_f16_e32 v77, v54, v64
	;; [unrolled: 1-line block ×3, first 2 shown]
	v_sub_f16_e32 v54, v54, v64
	v_pack_b32_f16 v53, v55, v53
	v_fma_f16 v64, v77, -0.5, v89
	ds_write_b32 v179, v53 offset:720
	v_mad_legacy_u16 v53, v192, s17, v193
	v_pack_b32_f16 v55, v65, v78
	v_fma_f16 v65, v79, s0, v64
	v_fma_f16 v77, v54, s1, v58
	v_pack_b32_f16 v65, v65, v77
	v_lshlrev_b32_e32 v180, 2, v53
	ds_write2_b32 v180, v55, v65 offset1:90
	v_lshrrev_b32_e32 v53, 16, v181
	v_mul_f16_sdwa v65, v181, v62 dst_sel:DWORD dst_unused:UNUSED_PAD src0_sel:DWORD src1_sel:WORD_1
	v_mul_f16_sdwa v55, v53, v62 dst_sel:DWORD dst_unused:UNUSED_PAD src0_sel:DWORD src1_sel:WORD_1
	v_fma_f16 v53, v53, v62, v65
	v_lshrrev_b32_e32 v65, 16, v183
	v_mul_f16_sdwa v77, v65, v63 dst_sel:DWORD dst_unused:UNUSED_PAD src0_sel:DWORD src1_sel:WORD_1
	v_mul_f16_sdwa v78, v183, v63 dst_sel:DWORD dst_unused:UNUSED_PAD src0_sel:DWORD src1_sel:WORD_1
	v_fma_f16 v55, v181, v62, -v55
	v_fma_f16 v77, v183, v63, -v77
	v_fma_f16 v65, v65, v63, v78
	v_lshrrev_b32_e32 v78, 16, v90
	v_fma_f16 v64, v79, s1, v64
	v_fma_f16 v54, v54, s0, v58
	v_add_f16_e32 v58, v55, v77
	v_add_f16_e32 v79, v90, v55
	;; [unrolled: 1-line block ×3, first 2 shown]
	v_sub_f16_e32 v81, v53, v65
	v_add_f16_e32 v53, v53, v65
	v_fma_f16 v58, v58, -0.5, v90
	v_add_f16_e32 v80, v80, v65
	v_fma_f16 v53, v53, -0.5, v78
	v_add_f16_e32 v65, v79, v77
	v_sub_f16_e32 v55, v55, v77
	v_pack_b32_f16 v54, v64, v54
	ds_write_b32 v180, v54 offset:720
	v_mad_legacy_u16 v54, v194, s17, v195
	v_pack_b32_f16 v64, v65, v80
	v_fma_f16 v65, v81, s0, v58
	v_fma_f16 v77, v55, s1, v53
	v_pack_b32_f16 v65, v65, v77
	v_lshlrev_b32_e32 v181, 2, v54
	ds_write2_b32 v181, v64, v65 offset1:90
	v_fma_f16 v54, v81, s1, v58
	v_fma_f16 v53, v55, s0, v53
	v_lshrrev_b32_e32 v55, 16, v186
	v_mul_f16_sdwa v58, v186, v60 dst_sel:DWORD dst_unused:UNUSED_PAD src0_sel:DWORD src1_sel:WORD_1
	v_lshrrev_b32_e32 v64, 16, v188
	v_mul_f16_sdwa v65, v188, v61 dst_sel:DWORD dst_unused:UNUSED_PAD src0_sel:DWORD src1_sel:WORD_1
	v_fma_f16 v58, v55, v60, v58
	v_fma_f16 v65, v64, v61, v65
	v_lshrrev_b32_e32 v77, 16, v184
	v_mul_f16_sdwa v55, v55, v60 dst_sel:DWORD dst_unused:UNUSED_PAD src0_sel:DWORD src1_sel:WORD_1
	v_mul_f16_sdwa v64, v64, v61 dst_sel:DWORD dst_unused:UNUSED_PAD src0_sel:DWORD src1_sel:WORD_1
	v_add_f16_e32 v78, v77, v58
	v_sub_f16_e32 v79, v58, v65
	v_add_f16_e32 v58, v58, v65
	v_fma_f16 v55, v186, v60, -v55
	v_fma_f16 v64, v188, v61, -v64
	v_add_f16_e32 v78, v78, v65
	v_fma_f16 v58, v58, -0.5, v77
	v_add_f16_e32 v65, v184, v55
	v_add_f16_e32 v77, v55, v64
	v_pack_b32_f16 v53, v54, v53
	v_add_f16_e32 v65, v65, v64
	v_sub_f16_e32 v55, v55, v64
	ds_write_b32 v181, v53 offset:720
	v_mad_legacy_u16 v53, v59, s17, v196
	v_fma_f16 v59, v77, -0.5, v184
	v_pack_b32_f16 v54, v65, v78
	v_fma_f16 v64, v79, s0, v59
	v_fma_f16 v65, v55, s1, v58
	v_pack_b32_f16 v64, v64, v65
	v_lshlrev_b32_e32 v182, 2, v53
	ds_write2_b32 v182, v54, v64 offset1:90
	v_lshrrev_b32_e32 v53, 16, v187
	v_mul_f16_sdwa v64, v187, v56 dst_sel:DWORD dst_unused:UNUSED_PAD src0_sel:DWORD src1_sel:WORD_1
	v_mul_f16_sdwa v54, v53, v56 dst_sel:DWORD dst_unused:UNUSED_PAD src0_sel:DWORD src1_sel:WORD_1
	v_fma_f16 v53, v53, v56, v64
	v_lshrrev_b32_e32 v64, 16, v189
	v_mul_f16_sdwa v65, v64, v57 dst_sel:DWORD dst_unused:UNUSED_PAD src0_sel:DWORD src1_sel:WORD_1
	v_mul_f16_sdwa v77, v189, v57 dst_sel:DWORD dst_unused:UNUSED_PAD src0_sel:DWORD src1_sel:WORD_1
	v_fma_f16 v54, v187, v56, -v54
	v_fma_f16 v65, v189, v57, -v65
	v_fma_f16 v64, v64, v57, v77
	v_lshrrev_b32_e32 v77, 16, v185
	v_fma_f16 v59, v79, s1, v59
	v_fma_f16 v55, v55, s0, v58
	v_add_f16_e32 v58, v54, v65
	v_add_f16_e32 v78, v185, v54
	;; [unrolled: 1-line block ×3, first 2 shown]
	v_sub_f16_e32 v80, v53, v64
	v_add_f16_e32 v53, v53, v64
	v_fma_f16 v58, v58, -0.5, v185
	v_add_f16_e32 v79, v79, v64
	v_fma_f16 v53, v53, -0.5, v77
	v_add_f16_e32 v64, v78, v65
	v_sub_f16_e32 v54, v54, v65
	v_pack_b32_f16 v55, v59, v55
	ds_write_b32 v182, v55 offset:720
	v_pack_b32_f16 v55, v64, v79
	v_fma_f16 v59, v80, s0, v58
	v_fma_f16 v64, v54, s1, v53
	v_lshlrev_b32_e32 v183, 2, v197
	v_pack_b32_f16 v59, v59, v64
	v_add_u32_e32 v184, 0x2000, v183
	ds_write2_b32 v184, v55, v59 offset0:112 offset1:202
	v_fma_f16 v55, v80, s1, v58
	v_fma_f16 v53, v54, s0, v53
	v_pack_b32_f16 v53, v55, v53
	ds_write_b32 v183, v53 offset:9360
	s_waitcnt lgkmcnt(0)
	s_barrier
	global_load_dwordx2 v[58:59], v76, s[2:3] offset:1040
	v_lshlrev_b32_e32 v77, 3, v52
	global_load_dwordx2 v[64:65], v77, s[2:3] offset:1040
	global_load_dwordx2 v[54:55], v76, s[2:3] offset:1472
	;; [unrolled: 1-line block ×3, first 2 shown]
	s_movk_i32 s17, 0xffe5
	v_add_co_u32_e32 v78, vcc, s17, v142
	ds_read2_b32 v[80:81], v130 offset0:42 offset1:123
	v_addc_co_u32_e64 v79, s[18:19], 0, -1, vcc
	v_cmp_gt_u16_e32 vcc, 27, v142
	v_cndmask_b32_e32 v186, v79, v74, vcc
	v_cndmask_b32_e32 v185, v78, v72, vcc
	v_lshlrev_b64 v[78:79], 3, v[185:186]
	s_waitcnt lgkmcnt(0)
	v_lshrrev_b32_e32 v74, 16, v80
	v_add_co_u32_e32 v82, vcc, s2, v78
	s_movk_i32 s17, 0x795d
	v_addc_co_u32_e32 v83, vcc, v75, v79, vcc
	ds_read2_b32 v[86:87], v145 offset0:84 offset1:165
	v_lshlrev_b32_e32 v72, 3, v72
	v_lshlrev_b32_e32 v92, 3, v92
	;; [unrolled: 1-line block ×3, first 2 shown]
	s_waitcnt lgkmcnt(0)
	v_lshrrev_b32_e32 v101, 16, v86
	s_waitcnt vmcnt(3)
	v_mul_f16_sdwa v78, v80, v58 dst_sel:DWORD dst_unused:UNUSED_PAD src0_sel:DWORD src1_sel:WORD_1
	v_fma_f16 v93, v74, v58, v78
	v_mul_f16_sdwa v74, v74, v58 dst_sel:DWORD dst_unused:UNUSED_PAD src0_sel:DWORD src1_sel:WORD_1
	v_fma_f16 v95, v80, v58, -v74
	v_lshrrev_b32_e32 v74, 16, v81
	s_waitcnt vmcnt(2)
	v_mul_f16_sdwa v78, v74, v64 dst_sel:DWORD dst_unused:UNUSED_PAD src0_sel:DWORD src1_sel:WORD_1
	v_fma_f16 v97, v81, v64, -v78
	v_mul_f16_sdwa v78, v81, v64 dst_sel:DWORD dst_unused:UNUSED_PAD src0_sel:DWORD src1_sel:WORD_1
	v_fma_f16 v99, v74, v64, v78
	v_mul_u32_u24_sdwa v74, v96, s17 dst_sel:DWORD dst_unused:UNUSED_PAD src0_sel:WORD_0 src1_sel:DWORD
	v_lshrrev_b32_e32 v74, 23, v74
	v_mul_lo_u16_e32 v78, 0x10e, v74
	v_sub_u16_e32 v78, v96, v78
	v_lshlrev_b16_e32 v79, 3, v78
	v_add_co_u32_e32 v80, vcc, s2, v79
	v_mul_u32_u24_sdwa v79, v98, s17 dst_sel:DWORD dst_unused:UNUSED_PAD src0_sel:WORD_0 src1_sel:DWORD
	v_lshrrev_b32_e32 v79, 23, v79
	v_mul_lo_u16_e32 v79, 0x10e, v79
	v_sub_u16_e32 v79, v98, v79
	v_addc_co_u32_e32 v81, vcc, 0, v75, vcc
	v_lshlrev_b16_e32 v84, 3, v79
	v_add_co_u32_e32 v88, vcc, s2, v84
	v_addc_co_u32_e32 v89, vcc, 0, v75, vcc
	global_load_dwordx2 v[84:85], v[80:81], off offset:1040
	s_nop 0
	global_load_dwordx2 v[80:81], v[88:89], off offset:1040
	s_nop 0
	global_load_dwordx2 v[88:89], v[82:83], off offset:1040
	global_load_dwordx2 v[90:91], v73, s[2:3] offset:1040
	v_mul_f16_sdwa v82, v86, v59 dst_sel:DWORD dst_unused:UNUSED_PAD src0_sel:DWORD src1_sel:WORD_1
	v_fma_f16 v103, v101, v59, v82
	v_mul_f16_sdwa v82, v101, v59 dst_sel:DWORD dst_unused:UNUSED_PAD src0_sel:DWORD src1_sel:WORD_1
	v_fma_f16 v101, v86, v59, -v82
	v_lshrrev_b32_e32 v82, 16, v87
	v_mul_f16_sdwa v83, v82, v65 dst_sel:DWORD dst_unused:UNUSED_PAD src0_sel:DWORD src1_sel:WORD_1
	v_fma_f16 v210, v87, v65, -v83
	v_mul_f16_sdwa v83, v87, v65 dst_sel:DWORD dst_unused:UNUSED_PAD src0_sel:DWORD src1_sel:WORD_1
	v_fma_f16 v211, v82, v65, v83
	v_mul_u32_u24_sdwa v82, v100, s17 dst_sel:DWORD dst_unused:UNUSED_PAD src0_sel:WORD_0 src1_sel:DWORD
	v_lshrrev_b32_e32 v82, 23, v82
	v_mul_u32_u24_sdwa v86, v102, s17 dst_sel:DWORD dst_unused:UNUSED_PAD src0_sel:WORD_0 src1_sel:DWORD
	v_mul_lo_u16_e32 v82, 0x10e, v82
	v_lshrrev_b32_e32 v86, 23, v86
	v_sub_u16_e32 v212, v100, v82
	v_mul_lo_u16_e32 v86, 0x10e, v86
	v_lshlrev_b16_e32 v82, 3, v212
	v_sub_u16_e32 v213, v102, v86
	ds_read2_b32 v[86:87], v0 offset1:81
	v_add_co_u32_e32 v82, vcc, s2, v82
	v_addc_co_u32_e32 v83, vcc, 0, v75, vcc
	v_lshlrev_b16_e32 v186, 3, v213
	v_add_co_u32_e32 v186, vcc, s2, v186
	v_addc_co_u32_e32 v187, vcc, 0, v75, vcc
	v_add_f16_e32 v75, v95, v101
	s_waitcnt lgkmcnt(0)
	v_fma_f16 v75, v75, -0.5, v86
	v_sub_f16_e32 v188, v93, v103
	v_fma_f16 v189, v188, s0, v75
	v_fma_f16 v75, v188, s1, v75
	v_lshrrev_b32_e32 v188, 16, v86
	v_add_f16_e32 v190, v188, v93
	v_add_f16_e32 v93, v93, v103
	v_fma_f16 v93, v93, -0.5, v188
	v_add_f16_e32 v86, v86, v95
	v_sub_f16_e32 v95, v95, v101
	v_add_f16_e32 v190, v190, v103
	v_add_f16_e32 v86, v86, v101
	v_fma_f16 v101, v95, s1, v93
	v_fma_f16 v93, v95, s0, v93
	v_add_f16_e32 v95, v97, v210
	v_fma_f16 v95, v95, -0.5, v87
	v_lshrrev_b32_e32 v103, 16, v87
	v_add_f16_e32 v214, v87, v97
	v_pack_b32_f16 v215, v86, v190
	global_load_dwordx2 v[86:87], v[82:83], off offset:1040
	s_nop 0
	global_load_dwordx2 v[82:83], v[186:187], off offset:1040
	v_pack_b32_f16 v75, v75, v93
	v_add_f16_e32 v93, v103, v99
	v_pack_b32_f16 v101, v189, v101
	ds_read2_b32 v[186:187], v0 offset0:162 offset1:243
	ds_read2_b32 v[188:189], v148 offset0:76 offset1:157
	;; [unrolled: 1-line block ×12, first 2 shown]
	s_waitcnt vmcnt(0) lgkmcnt(0)
	s_barrier
	ds_write_b32 v0, v75 offset:2160
	v_add_f16_e32 v75, v214, v210
	v_add_f16_e32 v93, v93, v211
	v_pack_b32_f16 v75, v75, v93
	v_add_f16_e32 v93, v99, v211
	ds_write_b32 v0, v101 offset:1080
	ds_write2_b32 v0, v215, v75 offset1:81
	v_sub_f16_e32 v75, v99, v211
	v_fma_f16 v93, v93, -0.5, v103
	v_sub_f16_e32 v97, v97, v210
	v_lshrrev_b32_e32 v99, 16, v188
	v_lshrrev_b32_e32 v103, 16, v190
	;; [unrolled: 1-line block ×3, first 2 shown]
	v_cmp_lt_u16_e32 vcc, 26, v142
	v_mad_legacy_u16 v74, v74, s16, v78
	v_lshlrev_b32_e32 v96, 3, v96
	v_lshlrev_b32_e32 v98, 3, v98
	v_lshlrev_b32_e32 v100, 3, v100
	v_lshlrev_b32_e32 v102, 3, v102
	v_mul_f16_sdwa v101, v188, v90 dst_sel:DWORD dst_unused:UNUSED_PAD src0_sel:DWORD src1_sel:WORD_1
	v_mul_f16_sdwa v210, v190, v91 dst_sel:DWORD dst_unused:UNUSED_PAD src0_sel:DWORD src1_sel:WORD_1
	v_fma_f16 v101, v99, v90, v101
	v_fma_f16 v210, v103, v91, v210
	v_mul_f16_sdwa v99, v99, v90 dst_sel:DWORD dst_unused:UNUSED_PAD src0_sel:DWORD src1_sel:WORD_1
	v_mul_f16_sdwa v103, v103, v91 dst_sel:DWORD dst_unused:UNUSED_PAD src0_sel:DWORD src1_sel:WORD_1
	v_fma_f16 v99, v188, v90, -v99
	v_fma_f16 v103, v190, v91, -v103
	v_add_f16_e32 v214, v211, v101
	v_sub_f16_e32 v215, v101, v210
	v_add_f16_e32 v101, v101, v210
	v_add_f16_e32 v190, v99, v103
	v_fma_f16 v101, v101, -0.5, v211
	v_add_f16_e32 v188, v186, v99
	v_sub_f16_e32 v99, v99, v103
	v_fma_f16 v186, v190, -0.5, v186
	v_add_f16_e32 v214, v214, v210
	v_add_f16_e32 v188, v188, v103
	v_fma_f16 v103, v75, s0, v95
	v_fma_f16 v210, v97, s1, v93
	;; [unrolled: 1-line block ×6, first 2 shown]
	v_pack_b32_f16 v188, v188, v214
	v_pack_b32_f16 v75, v75, v93
	;; [unrolled: 1-line block ×3, first 2 shown]
	ds_write_b32 v0, v188 offset:648
	ds_write2_b32 v149, v75, v93 offset0:109 offset1:190
	v_mov_b32_e32 v75, 0x32a
	v_cndmask_b32_e32 v75, 0, v75, vcc
	v_add_lshl_u32 v185, v185, v75, 2
	v_lshrrev_b32_e32 v75, 16, v189
	v_mul_f16_sdwa v95, v189, v88 dst_sel:DWORD dst_unused:UNUSED_PAD src0_sel:DWORD src1_sel:WORD_1
	v_fma_f16 v188, v215, s0, v186
	v_fma_f16 v190, v99, s1, v101
	v_mul_f16_sdwa v93, v75, v88 dst_sel:DWORD dst_unused:UNUSED_PAD src0_sel:DWORD src1_sel:WORD_1
	v_fma_f16 v75, v75, v88, v95
	v_lshrrev_b32_e32 v95, 16, v191
	v_mul_f16_sdwa v99, v191, v89 dst_sel:DWORD dst_unused:UNUSED_PAD src0_sel:DWORD src1_sel:WORD_1
	v_pack_b32_f16 v103, v103, v210
	v_pack_b32_f16 v188, v188, v190
	v_mul_f16_sdwa v97, v95, v89 dst_sel:DWORD dst_unused:UNUSED_PAD src0_sel:DWORD src1_sel:WORD_1
	v_fma_f16 v95, v95, v89, v99
	v_lshrrev_b32_e32 v99, 16, v194
	v_mul_f16_sdwa v101, v194, v54 dst_sel:DWORD dst_unused:UNUSED_PAD src0_sel:DWORD src1_sel:WORD_1
	ds_write2_b32 v133, v103, v188 offset0:95 offset1:176
	v_fma_f16 v101, v99, v54, v101
	v_mul_f16_sdwa v99, v99, v54 dst_sel:DWORD dst_unused:UNUSED_PAD src0_sel:DWORD src1_sel:WORD_1
	v_lshrrev_b32_e32 v103, 16, v195
	v_mul_f16_sdwa v188, v195, v52 dst_sel:DWORD dst_unused:UNUSED_PAD src0_sel:DWORD src1_sel:WORD_1
	v_fma_f16 v93, v189, v88, -v93
	v_fma_f16 v97, v191, v89, -v97
	;; [unrolled: 1-line block ×3, first 2 shown]
	v_mul_f16_sdwa v186, v103, v52 dst_sel:DWORD dst_unused:UNUSED_PAD src0_sel:DWORD src1_sel:WORD_1
	v_fma_f16 v103, v103, v52, v188
	v_lshrrev_b32_e32 v188, 16, v196
	v_mul_f16_sdwa v189, v196, v55 dst_sel:DWORD dst_unused:UNUSED_PAD src0_sel:DWORD src1_sel:WORD_1
	v_lshrrev_b32_e32 v190, 16, v197
	v_mul_f16_sdwa v194, v197, v53 dst_sel:DWORD dst_unused:UNUSED_PAD src0_sel:DWORD src1_sel:WORD_1
	v_fma_f16 v189, v188, v55, v189
	v_mul_f16_sdwa v188, v188, v55 dst_sel:DWORD dst_unused:UNUSED_PAD src0_sel:DWORD src1_sel:WORD_1
	v_mul_f16_sdwa v191, v190, v53 dst_sel:DWORD dst_unused:UNUSED_PAD src0_sel:DWORD src1_sel:WORD_1
	v_fma_f16 v190, v190, v53, v194
	v_add_f16_e32 v194, v93, v97
	v_fma_f16 v186, v195, v52, -v186
	v_fma_f16 v188, v196, v55, -v188
	v_fma_f16 v194, v194, -0.5, v187
	v_lshrrev_b32_e32 v195, 16, v187
	v_sub_f16_e32 v196, v75, v95
	v_fma_f16 v191, v197, v53, -v191
	v_add_f16_e32 v187, v187, v93
	v_fma_f16 v197, v196, s0, v194
	v_fma_f16 v194, v196, s1, v194
	v_add_f16_e32 v196, v195, v75
	v_add_f16_e32 v75, v75, v95
	;; [unrolled: 1-line block ×3, first 2 shown]
	v_fma_f16 v75, v75, -0.5, v195
	v_add_f16_e32 v95, v187, v97
	v_sub_f16_e32 v93, v93, v97
	v_fma_f16 v97, v93, s1, v75
	v_pack_b32_f16 v95, v95, v196
	v_fma_f16 v75, v93, s0, v75
	v_add_f16_e32 v93, v99, v188
	v_lshrrev_b32_e32 v195, 16, v192
	ds_write_b32 v185, v95
	v_pack_b32_f16 v95, v197, v97
	v_fma_f16 v93, v93, -0.5, v192
	v_add_f16_e32 v187, v186, v191
	v_lshrrev_b32_e32 v210, 16, v193
	v_add_f16_e32 v192, v192, v99
	ds_write_b32 v185, v95 offset:1080
	v_pack_b32_f16 v75, v194, v75
	v_add_f16_e32 v95, v195, v101
	v_fma_f16 v187, v187, -0.5, v193
	v_add_f16_e32 v193, v193, v186
	ds_write_b32 v185, v75 offset:2160
	v_add_f16_e32 v75, v192, v188
	v_add_f16_e32 v95, v95, v189
	;; [unrolled: 1-line block ×3, first 2 shown]
	v_pack_b32_f16 v75, v75, v95
	v_add_f16_e32 v95, v193, v191
	v_add_f16_e32 v97, v97, v190
	v_pack_b32_f16 v95, v95, v97
	ds_write2_b32 v130, v75, v95 offset0:96 offset1:177
	v_sub_f16_e32 v75, v101, v189
	v_add_f16_e32 v95, v101, v189
	v_add_f16_e32 v101, v103, v190
	v_fma_f16 v95, v95, -0.5, v195
	v_sub_f16_e32 v97, v99, v188
	v_sub_f16_e32 v99, v103, v190
	v_fma_f16 v101, v101, -0.5, v210
	v_sub_f16_e32 v103, v186, v191
	v_fma_f16 v186, v75, s0, v93
	v_fma_f16 v188, v97, s1, v95
	;; [unrolled: 1-line block ×6, first 2 shown]
	v_pack_b32_f16 v186, v186, v188
	v_fma_f16 v188, v99, s0, v187
	v_pack_b32_f16 v75, v75, v93
	v_pack_b32_f16 v93, v95, v97
	v_lshrrev_b32_e32 v95, 16, v201
	v_mul_f16_sdwa v99, v201, v80 dst_sel:DWORD dst_unused:UNUSED_PAD src0_sel:DWORD src1_sel:WORD_1
	v_fma_f16 v189, v103, s1, v101
	ds_write2_b32 v129, v75, v93 offset0:124 offset1:205
	v_lshrrev_b32_e32 v75, 16, v200
	v_mul_f16_sdwa v93, v200, v84 dst_sel:DWORD dst_unused:UNUSED_PAD src0_sel:DWORD src1_sel:WORD_1
	v_mul_f16_sdwa v97, v95, v80 dst_sel:DWORD dst_unused:UNUSED_PAD src0_sel:DWORD src1_sel:WORD_1
	v_fma_f16 v95, v95, v80, v99
	v_lshrrev_b32_e32 v99, 16, v202
	v_mul_f16_sdwa v101, v202, v85 dst_sel:DWORD dst_unused:UNUSED_PAD src0_sel:DWORD src1_sel:WORD_1
	v_fma_f16 v93, v75, v84, v93
	v_mul_f16_sdwa v75, v75, v84 dst_sel:DWORD dst_unused:UNUSED_PAD src0_sel:DWORD src1_sel:WORD_1
	v_fma_f16 v101, v99, v85, v101
	v_mul_f16_sdwa v99, v99, v85 dst_sel:DWORD dst_unused:UNUSED_PAD src0_sel:DWORD src1_sel:WORD_1
	v_fma_f16 v75, v200, v84, -v75
	v_fma_f16 v99, v202, v85, -v99
	v_lshrrev_b32_e32 v193, 16, v209
	v_mul_f16_sdwa v195, v209, v83 dst_sel:DWORD dst_unused:UNUSED_PAD src0_sel:DWORD src1_sel:WORD_1
	v_mul_f16_sdwa v194, v193, v83 dst_sel:DWORD dst_unused:UNUSED_PAD src0_sel:DWORD src1_sel:WORD_1
	v_fma_f16 v193, v193, v83, v195
	v_add_f16_e32 v195, v75, v99
	v_fma_f16 v195, v195, -0.5, v198
	v_sub_f16_e32 v196, v93, v101
	v_pack_b32_f16 v188, v188, v189
	v_lshrrev_b32_e32 v103, 16, v203
	v_fma_f16 v197, v196, s0, v195
	v_fma_f16 v195, v196, s1, v195
	v_lshrrev_b32_e32 v196, 16, v198
	ds_write2_b32 v147, v186, v188 offset0:110 offset1:191
	v_mul_f16_sdwa v186, v103, v81 dst_sel:DWORD dst_unused:UNUSED_PAD src0_sel:DWORD src1_sel:WORD_1
	v_add_f16_e32 v200, v196, v93
	v_add_f16_e32 v93, v93, v101
	v_fma_f16 v97, v201, v80, -v97
	v_fma_f16 v186, v203, v81, -v186
	v_mul_f16_sdwa v187, v203, v81 dst_sel:DWORD dst_unused:UNUSED_PAD src0_sel:DWORD src1_sel:WORD_1
	v_add_f16_e32 v200, v200, v101
	v_fma_f16 v93, v93, -0.5, v196
	v_add_f16_e32 v101, v198, v75
	v_sub_f16_e32 v75, v75, v99
	v_fma_f16 v103, v103, v81, v187
	v_lshrrev_b32_e32 v189, 16, v207
	v_mul_f16_sdwa v191, v207, v82 dst_sel:DWORD dst_unused:UNUSED_PAD src0_sel:DWORD src1_sel:WORD_1
	v_add_f16_e32 v101, v101, v99
	v_fma_f16 v99, v75, s1, v93
	v_fma_f16 v75, v75, s0, v93
	v_add_f16_e32 v93, v97, v186
	v_lshrrev_b32_e32 v187, 16, v206
	v_mul_f16_sdwa v188, v206, v86 dst_sel:DWORD dst_unused:UNUSED_PAD src0_sel:DWORD src1_sel:WORD_1
	v_mul_f16_sdwa v190, v189, v82 dst_sel:DWORD dst_unused:UNUSED_PAD src0_sel:DWORD src1_sel:WORD_1
	v_fma_f16 v189, v189, v82, v191
	v_lshrrev_b32_e32 v191, 16, v208
	v_mul_f16_sdwa v192, v208, v87 dst_sel:DWORD dst_unused:UNUSED_PAD src0_sel:DWORD src1_sel:WORD_1
	v_fma_f16 v93, v93, -0.5, v199
	v_lshrrev_b32_e32 v196, 16, v199
	v_add_f16_e32 v198, v199, v97
	v_sub_f16_e32 v199, v95, v103
	v_fma_f16 v188, v187, v86, v188
	v_mul_f16_sdwa v187, v187, v86 dst_sel:DWORD dst_unused:UNUSED_PAD src0_sel:DWORD src1_sel:WORD_1
	v_fma_f16 v192, v191, v87, v192
	v_mul_f16_sdwa v191, v191, v87 dst_sel:DWORD dst_unused:UNUSED_PAD src0_sel:DWORD src1_sel:WORD_1
	v_fma_f16 v201, v199, s0, v93
	v_fma_f16 v93, v199, s1, v93
	v_add_f16_e32 v199, v196, v95
	v_add_f16_e32 v95, v95, v103
	v_fma_f16 v187, v206, v86, -v187
	v_fma_f16 v191, v208, v87, -v191
	v_fma_f16 v95, v95, -0.5, v196
	v_sub_f16_e32 v97, v97, v186
	v_add_f16_e32 v199, v199, v103
	v_add_f16_e32 v103, v198, v186
	v_fma_f16 v186, v97, s1, v95
	v_fma_f16 v95, v97, s0, v95
	v_add_f16_e32 v97, v187, v191
	v_fma_f16 v97, v97, -0.5, v204
	v_sub_f16_e32 v196, v188, v192
	v_fma_f16 v198, v196, s0, v97
	v_fma_f16 v97, v196, s1, v97
	v_lshrrev_b32_e32 v196, 16, v204
	v_add_f16_e32 v202, v196, v188
	v_add_f16_e32 v188, v188, v192
	v_fma_f16 v190, v207, v82, -v190
	v_fma_f16 v194, v209, v83, -v194
	v_add_f16_e32 v202, v202, v192
	v_fma_f16 v188, v188, -0.5, v196
	v_add_f16_e32 v192, v204, v187
	v_sub_f16_e32 v187, v187, v191
	v_add_f16_e32 v192, v192, v191
	v_fma_f16 v191, v187, s1, v188
	v_fma_f16 v187, v187, s0, v188
	v_add_f16_e32 v188, v190, v194
	v_fma_f16 v188, v188, -0.5, v205
	v_lshrrev_b32_e32 v196, 16, v205
	v_sub_f16_e32 v204, v189, v193
	v_add_f16_e32 v203, v205, v190
	v_fma_f16 v205, v204, s0, v188
	v_fma_f16 v204, v204, s1, v188
	v_add_f16_e32 v188, v196, v189
	v_add_f16_e32 v206, v188, v193
	;; [unrolled: 1-line block ×3, first 2 shown]
	v_fma_f16 v188, v188, -0.5, v196
	v_sub_f16_e32 v189, v190, v194
	v_add_f16_e32 v193, v203, v194
	v_fma_f16 v190, v189, s1, v188
	v_fma_f16 v194, v189, s0, v188
	v_lshlrev_b32_e32 v189, 2, v74
	v_pack_b32_f16 v74, v197, v99
	ds_write_b32 v189, v74 offset:1080
	v_pack_b32_f16 v74, v195, v75
	v_pack_b32_f16 v78, v101, v200
	ds_write_b32 v189, v74 offset:2160
	v_pack_b32_f16 v74, v103, v199
	v_lshlrev_b32_e32 v188, 2, v79
	ds_write_b32 v189, v78
	ds_write_b32 v188, v74 offset:6480
	v_pack_b32_f16 v74, v201, v186
	ds_write_b32 v188, v74 offset:7560
	v_pack_b32_f16 v74, v93, v95
	ds_write_b32 v188, v74 offset:8640
	v_pack_b32_f16 v74, v192, v202
	v_lshlrev_b32_e32 v186, 2, v212
	ds_write_b32 v186, v74 offset:6480
	v_pack_b32_f16 v74, v198, v191
	ds_write_b32 v186, v74 offset:7560
	v_pack_b32_f16 v74, v97, v187
	;; [unrolled: 2-line block ×3, first 2 shown]
	v_lshlrev_b32_e32 v187, 2, v213
	ds_write_b32 v187, v74 offset:6480
	v_pack_b32_f16 v74, v205, v190
	ds_write_b32 v187, v74 offset:7560
	v_pack_b32_f16 v74, v204, v194
	ds_write_b32 v187, v74 offset:8640
	s_waitcnt lgkmcnt(0)
	s_barrier
	global_load_dwordx2 v[78:79], v76, s[2:3] offset:3200
	s_nop 0
	global_load_dwordx2 v[76:77], v77, s[2:3] offset:3200
	s_nop 0
	global_load_dwordx2 v[74:75], v73, s[2:3] offset:3200
	ds_read2_b32 v[190:191], v130 offset0:42 offset1:123
	global_load_dwordx2 v[72:73], v72, s[2:3] offset:3200
	ds_read2_b32 v[192:193], v145 offset0:84 offset1:165
	s_waitcnt lgkmcnt(1)
	v_lshrrev_b32_e32 v93, 16, v190
	v_lshrrev_b32_e32 v97, 16, v191
	s_waitcnt vmcnt(3)
	v_mul_f16_sdwa v95, v190, v78 dst_sel:DWORD dst_unused:UNUSED_PAD src0_sel:DWORD src1_sel:WORD_1
	s_waitcnt vmcnt(2)
	v_mul_f16_sdwa v101, v191, v76 dst_sel:DWORD dst_unused:UNUSED_PAD src0_sel:DWORD src1_sel:WORD_1
	v_fma_f16 v95, v93, v78, v95
	v_mul_f16_sdwa v93, v93, v78 dst_sel:DWORD dst_unused:UNUSED_PAD src0_sel:DWORD src1_sel:WORD_1
	v_mul_f16_sdwa v99, v97, v76 dst_sel:DWORD dst_unused:UNUSED_PAD src0_sel:DWORD src1_sel:WORD_1
	v_fma_f16 v97, v97, v76, v101
	s_waitcnt lgkmcnt(0)
	v_lshrrev_b32_e32 v101, 16, v192
	v_mul_f16_sdwa v103, v192, v79 dst_sel:DWORD dst_unused:UNUSED_PAD src0_sel:DWORD src1_sel:WORD_1
	v_fma_f16 v93, v190, v78, -v93
	v_fma_f16 v99, v191, v76, -v99
	v_fma_f16 v103, v101, v79, v103
	v_mul_f16_sdwa v101, v101, v79 dst_sel:DWORD dst_unused:UNUSED_PAD src0_sel:DWORD src1_sel:WORD_1
	ds_read2_b32 v[190:191], v0 offset1:81
	v_fma_f16 v101, v192, v79, -v101
	v_lshrrev_b32_e32 v192, 16, v193
	v_mul_f16_sdwa v194, v192, v77 dst_sel:DWORD dst_unused:UNUSED_PAD src0_sel:DWORD src1_sel:WORD_1
	v_fma_f16 v214, v193, v77, -v194
	v_mul_f16_sdwa v193, v193, v77 dst_sel:DWORD dst_unused:UNUSED_PAD src0_sel:DWORD src1_sel:WORD_1
	v_fma_f16 v215, v192, v77, v193
	v_add_f16_e32 v192, v93, v101
	s_waitcnt lgkmcnt(0)
	v_fma_f16 v192, v192, -0.5, v190
	v_sub_f16_e32 v193, v95, v103
	v_fma_f16 v194, v193, s0, v192
	v_fma_f16 v216, v193, s1, v192
	v_lshrrev_b32_e32 v192, 16, v190
	v_add_f16_e32 v193, v192, v95
	v_add_f16_e32 v95, v95, v103
	;; [unrolled: 1-line block ×3, first 2 shown]
	v_fma_f16 v95, v95, -0.5, v192
	v_add_f16_e32 v103, v190, v93
	v_sub_f16_e32 v93, v93, v101
	v_add_f16_e32 v103, v103, v101
	v_fma_f16 v101, v93, s1, v95
	v_fma_f16 v93, v93, s0, v95
	v_add_f16_e32 v95, v99, v214
	v_fma_f16 v217, v95, -0.5, v191
	v_lshrrev_b32_e32 v95, 16, v191
	v_pack_b32_f16 v101, v194, v101
	v_add_f16_e32 v218, v191, v99
	v_pack_b32_f16 v103, v103, v193
	ds_read2_b32 v[190:191], v0 offset0:162 offset1:243
	ds_read2_b32 v[192:193], v148 offset0:76 offset1:157
	;; [unrolled: 1-line block ×12, first 2 shown]
	ds_write_b32 v0, v101 offset:3240
	v_pack_b32_f16 v101, v216, v93
	v_add_f16_e32 v216, v95, v97
	global_load_dwordx2 v[92:93], v92, s[2:3] offset:3200
	ds_write_b32 v0, v101 offset:6480
	v_add_f16_e32 v101, v218, v214
	v_add_f16_e32 v216, v216, v215
	v_pack_b32_f16 v101, v101, v216
	ds_write2_b32 v0, v103, v101 offset1:81
	v_sub_f16_e32 v101, v97, v215
	v_add_f16_e32 v97, v97, v215
	v_fma_f16 v97, v97, -0.5, v95
	v_sub_f16_e32 v99, v99, v214
	v_fma_f16 v95, v101, s0, v217
	v_fma_f16 v103, v99, s1, v97
	v_pack_b32_f16 v103, v95, v103
	s_waitcnt lgkmcnt(13)
	v_lshrrev_b32_e32 v95, 16, v192
	s_waitcnt vmcnt(2)
	v_mul_f16_sdwa v214, v192, v74 dst_sel:DWORD dst_unused:UNUSED_PAD src0_sel:DWORD src1_sel:WORD_1
	v_fma_f16 v214, v95, v74, v214
	v_mul_f16_sdwa v95, v95, v74 dst_sel:DWORD dst_unused:UNUSED_PAD src0_sel:DWORD src1_sel:WORD_1
	v_fma_f16 v192, v192, v74, -v95
	s_waitcnt lgkmcnt(12)
	v_lshrrev_b32_e32 v95, 16, v194
	v_mul_f16_sdwa v215, v194, v75 dst_sel:DWORD dst_unused:UNUSED_PAD src0_sel:DWORD src1_sel:WORD_1
	v_fma_f16 v215, v95, v75, v215
	v_mul_f16_sdwa v95, v95, v75 dst_sel:DWORD dst_unused:UNUSED_PAD src0_sel:DWORD src1_sel:WORD_1
	v_fma_f16 v194, v194, v75, -v95
	v_add_f16_e32 v95, v192, v194
	v_lshrrev_b32_e32 v218, 16, v190
	v_add_f16_e32 v219, v214, v215
	v_fma_f16 v216, v95, -0.5, v190
	global_load_dwordx2 v[94:95], v94, s[2:3] offset:3200
	v_fma_f16 v219, v219, -0.5, v218
	v_sub_f16_e32 v220, v214, v215
	v_sub_f16_e32 v222, v192, v194
	v_fma_f16 v221, v220, s0, v216
	v_fma_f16 v223, v222, s1, v219
	v_pack_b32_f16 v221, v221, v223
	ds_write2_b32 v130, v103, v221 offset0:123 offset1:204
	v_fma_f16 v101, v101, s1, v217
	v_fma_f16 v97, v99, s0, v97
	;; [unrolled: 1-line block ×4, first 2 shown]
	v_pack_b32_f16 v97, v101, v97
	v_pack_b32_f16 v99, v99, v103
	ds_write2_b32 v145, v97, v99 offset0:165 offset1:246
	v_lshrrev_b32_e32 v97, 16, v193
	s_waitcnt vmcnt(2)
	v_mul_f16_sdwa v99, v97, v72 dst_sel:DWORD dst_unused:UNUSED_PAD src0_sel:DWORD src1_sel:WORD_1
	v_mul_f16_sdwa v101, v193, v72 dst_sel:DWORD dst_unused:UNUSED_PAD src0_sel:DWORD src1_sel:WORD_1
	v_fma_f16 v99, v193, v72, -v99
	v_fma_f16 v101, v97, v72, v101
	v_lshrrev_b32_e32 v97, 16, v195
	v_mul_f16_sdwa v193, v195, v73 dst_sel:DWORD dst_unused:UNUSED_PAD src0_sel:DWORD src1_sel:WORD_1
	v_mul_f16_sdwa v103, v97, v73 dst_sel:DWORD dst_unused:UNUSED_PAD src0_sel:DWORD src1_sel:WORD_1
	v_fma_f16 v193, v97, v73, v193
	v_add_f16_e32 v97, v190, v192
	v_fma_f16 v103, v195, v73, -v103
	v_add_f16_e32 v190, v97, v194
	v_add_f16_e32 v97, v218, v214
	;; [unrolled: 1-line block ×4, first 2 shown]
	v_fma_f16 v194, v97, -0.5, v191
	global_load_dwordx2 v[96:97], v96, s[2:3] offset:3200
	v_lshrrev_b32_e32 v195, 16, v191
	v_add_f16_e32 v191, v191, v99
	v_pack_b32_f16 v190, v190, v192
	v_add_f16_e32 v192, v195, v101
	v_add_f16_e32 v191, v191, v103
	;; [unrolled: 1-line block ×3, first 2 shown]
	v_pack_b32_f16 v191, v191, v192
	ds_write2_b32 v0, v190, v191 offset0:162 offset1:243
	v_sub_f16_e32 v190, v101, v193
	v_add_f16_e32 v101, v101, v193
	v_fma_f16 v101, v101, -0.5, v195
	v_sub_f16_e32 v103, v99, v103
	v_fma_f16 v99, v190, s0, v194
	v_fma_f16 v191, v103, s1, v101
	v_pack_b32_f16 v191, v99, v191
	global_load_dwordx2 v[98:99], v98, s[2:3] offset:3200
	s_waitcnt lgkmcnt(13)
	v_lshrrev_b32_e32 v192, 16, v198
	s_waitcnt lgkmcnt(12)
	v_lshrrev_b32_e32 v195, 16, v200
	v_lshrrev_b32_e32 v214, 16, v196
	v_fma_f16 v190, v190, s1, v194
	v_fma_f16 v101, v103, s0, v101
	s_waitcnt vmcnt(3)
	v_mul_f16_sdwa v193, v198, v92 dst_sel:DWORD dst_unused:UNUSED_PAD src0_sel:DWORD src1_sel:WORD_1
	v_fma_f16 v193, v192, v92, v193
	v_mul_f16_sdwa v192, v192, v92 dst_sel:DWORD dst_unused:UNUSED_PAD src0_sel:DWORD src1_sel:WORD_1
	v_fma_f16 v192, v198, v92, -v192
	v_mul_f16_sdwa v198, v200, v93 dst_sel:DWORD dst_unused:UNUSED_PAD src0_sel:DWORD src1_sel:WORD_1
	v_fma_f16 v198, v195, v93, v198
	v_mul_f16_sdwa v195, v195, v93 dst_sel:DWORD dst_unused:UNUSED_PAD src0_sel:DWORD src1_sel:WORD_1
	v_fma_f16 v195, v200, v93, -v195
	v_add_f16_e32 v200, v192, v195
	v_add_f16_e32 v215, v193, v198
	v_fma_f16 v200, v200, -0.5, v196
	v_fma_f16 v215, v215, -0.5, v214
	v_sub_f16_e32 v216, v193, v198
	v_sub_f16_e32 v218, v192, v195
	v_fma_f16 v217, v216, s0, v200
	v_fma_f16 v219, v218, s1, v215
	v_pack_b32_f16 v217, v217, v219
	ds_write2_b32 v147, v191, v217 offset0:29 offset1:110
	v_fma_f16 v103, v216, s1, v200
	v_fma_f16 v191, v218, s0, v215
	v_pack_b32_f16 v101, v190, v101
	v_pack_b32_f16 v103, v103, v191
	ds_write2_b32 v143, v101, v103 offset0:71 offset1:152
	v_lshrrev_b32_e32 v101, 16, v199
	s_waitcnt vmcnt(2)
	v_mul_f16_sdwa v190, v199, v94 dst_sel:DWORD dst_unused:UNUSED_PAD src0_sel:DWORD src1_sel:WORD_1
	v_mul_f16_sdwa v103, v101, v94 dst_sel:DWORD dst_unused:UNUSED_PAD src0_sel:DWORD src1_sel:WORD_1
	v_fma_f16 v190, v101, v94, v190
	v_lshrrev_b32_e32 v101, 16, v201
	v_mul_f16_sdwa v191, v101, v95 dst_sel:DWORD dst_unused:UNUSED_PAD src0_sel:DWORD src1_sel:WORD_1
	v_mul_f16_sdwa v194, v201, v95 dst_sel:DWORD dst_unused:UNUSED_PAD src0_sel:DWORD src1_sel:WORD_1
	v_fma_f16 v103, v199, v94, -v103
	v_fma_f16 v191, v201, v95, -v191
	v_fma_f16 v194, v101, v95, v194
	v_add_f16_e32 v101, v196, v192
	v_add_f16_e32 v101, v101, v195
	;; [unrolled: 1-line block ×4, first 2 shown]
	v_lshrrev_b32_e32 v195, 16, v197
	v_add_f16_e32 v192, v192, v198
	v_fma_f16 v193, v193, -0.5, v197
	v_add_f16_e32 v196, v197, v103
	v_add_f16_e32 v197, v195, v190
	v_pack_b32_f16 v192, v101, v192
	global_load_dwordx2 v[100:101], v100, s[2:3] offset:3200
	v_add_f16_e32 v196, v196, v191
	v_add_f16_e32 v197, v197, v194
	v_pack_b32_f16 v196, v196, v197
	ds_write2_b32 v133, v192, v196 offset0:68 offset1:149
	v_sub_f16_e32 v192, v190, v194
	v_add_f16_e32 v190, v190, v194
	v_fma_f16 v194, v190, -0.5, v195
	v_sub_f16_e32 v191, v103, v191
	v_fma_f16 v103, v192, s0, v193
	v_fma_f16 v190, v191, s1, v194
	v_pack_b32_f16 v195, v103, v190
	s_waitcnt lgkmcnt(13)
	v_lshrrev_b32_e32 v103, 16, v204
	s_waitcnt vmcnt(2)
	v_mul_f16_sdwa v190, v204, v96 dst_sel:DWORD dst_unused:UNUSED_PAD src0_sel:DWORD src1_sel:WORD_1
	v_fma_f16 v196, v103, v96, v190
	v_mul_f16_sdwa v103, v103, v96 dst_sel:DWORD dst_unused:UNUSED_PAD src0_sel:DWORD src1_sel:WORD_1
	v_fma_f16 v197, v204, v96, -v103
	global_load_dwordx2 v[102:103], v102, s[2:3] offset:3200
	s_waitcnt lgkmcnt(12)
	v_lshrrev_b32_e32 v190, 16, v206
	v_mul_f16_sdwa v198, v206, v97 dst_sel:DWORD dst_unused:UNUSED_PAD src0_sel:DWORD src1_sel:WORD_1
	v_fma_f16 v198, v190, v97, v198
	v_mul_f16_sdwa v190, v190, v97 dst_sel:DWORD dst_unused:UNUSED_PAD src0_sel:DWORD src1_sel:WORD_1
	v_fma_f16 v199, v206, v97, -v190
	v_add_f16_e32 v190, v197, v199
	v_fma_f16 v200, v190, -0.5, v202
	v_lshrrev_b32_e32 v201, 16, v202
	v_add_f16_e32 v190, v196, v198
	v_fma_f16 v204, v190, -0.5, v201
	v_sub_f16_e32 v206, v196, v198
	v_sub_f16_e32 v214, v197, v199
	v_fma_f16 v192, v192, s1, v193
	v_fma_f16 v191, v191, s0, v194
	;; [unrolled: 1-line block ×6, first 2 shown]
	v_pack_b32_f16 v191, v192, v191
	v_pack_b32_f16 v192, v193, v194
	;; [unrolled: 1-line block ×3, first 2 shown]
	v_add_u32_e32 v190, 0x1200, v0
	ds_write2_b32 v151, v191, v192 offset0:105 offset1:186
	v_lshrrev_b32_e32 v191, 16, v205
	s_waitcnt vmcnt(2)
	v_mul_f16_sdwa v193, v205, v98 dst_sel:DWORD dst_unused:UNUSED_PAD src0_sel:DWORD src1_sel:WORD_1
	ds_write2_b32 v190, v195, v215 offset0:63 offset1:144
	v_mul_f16_sdwa v192, v191, v98 dst_sel:DWORD dst_unused:UNUSED_PAD src0_sel:DWORD src1_sel:WORD_1
	v_fma_f16 v191, v191, v98, v193
	v_lshrrev_b32_e32 v193, 16, v207
	v_mul_f16_sdwa v195, v207, v99 dst_sel:DWORD dst_unused:UNUSED_PAD src0_sel:DWORD src1_sel:WORD_1
	v_fma_f16 v192, v205, v98, -v192
	v_mul_f16_sdwa v194, v193, v99 dst_sel:DWORD dst_unused:UNUSED_PAD src0_sel:DWORD src1_sel:WORD_1
	v_fma_f16 v193, v193, v99, v195
	v_add_f16_e32 v195, v202, v197
	v_add_f16_e32 v196, v201, v196
	v_fma_f16 v194, v207, v99, -v194
	v_add_f16_e32 v195, v195, v199
	v_add_f16_e32 v196, v196, v198
	v_lshrrev_b32_e32 v198, 16, v203
	v_add_f16_e32 v199, v203, v192
	v_pack_b32_f16 v195, v195, v196
	v_add_f16_e32 v196, v199, v194
	v_add_f16_e32 v199, v198, v191
	;; [unrolled: 1-line block ×3, first 2 shown]
	v_pack_b32_f16 v196, v196, v199
	v_add_f16_e32 v197, v192, v194
	ds_write2_b32 v150, v195, v196 offset0:102 offset1:183
	v_sub_f16_e32 v195, v191, v193
	v_add_f16_e32 v191, v191, v193
	v_fma_f16 v197, v197, -0.5, v203
	v_fma_f16 v191, v191, -0.5, v198
	v_sub_f16_e32 v192, v192, v194
	v_fma_f16 v196, v195, s0, v197
	v_fma_f16 v195, v195, s1, v197
	;; [unrolled: 1-line block ×4, first 2 shown]
	v_pack_b32_f16 v191, v195, v191
	v_pack_b32_f16 v192, v196, v193
	ds_write_b32 v0, v191 offset:8748
	s_waitcnt lgkmcnt(14)
	v_lshrrev_b32_e32 v191, 16, v210
	s_waitcnt lgkmcnt(13)
	v_lshrrev_b32_e32 v194, 16, v212
	v_lshrrev_b32_e32 v197, 16, v208
	s_waitcnt vmcnt(1)
	v_mul_f16_sdwa v193, v210, v100 dst_sel:DWORD dst_unused:UNUSED_PAD src0_sel:DWORD src1_sel:WORD_1
	v_mul_f16_sdwa v195, v212, v101 dst_sel:DWORD dst_unused:UNUSED_PAD src0_sel:DWORD src1_sel:WORD_1
	v_fma_f16 v193, v191, v100, v193
	v_mul_f16_sdwa v191, v191, v100 dst_sel:DWORD dst_unused:UNUSED_PAD src0_sel:DWORD src1_sel:WORD_1
	v_fma_f16 v195, v194, v101, v195
	v_mul_f16_sdwa v194, v194, v101 dst_sel:DWORD dst_unused:UNUSED_PAD src0_sel:DWORD src1_sel:WORD_1
	v_fma_f16 v191, v210, v100, -v191
	v_fma_f16 v194, v212, v101, -v194
	v_add_f16_e32 v196, v191, v194
	v_add_f16_e32 v198, v193, v195
	v_fma_f16 v196, v196, -0.5, v208
	v_fma_f16 v198, v198, -0.5, v197
	v_sub_f16_e32 v199, v193, v195
	v_sub_f16_e32 v201, v191, v194
	v_fma_f16 v200, v199, s0, v196
	v_fma_f16 v202, v201, s1, v198
	v_pack_b32_f16 v200, v200, v202
	ds_write2_b32 v129, v192, v200 offset0:97 offset1:178
	v_lshrrev_b32_e32 v192, 16, v211
	s_waitcnt vmcnt(0)
	v_mul_f16_sdwa v202, v211, v102 dst_sel:DWORD dst_unused:UNUSED_PAD src0_sel:DWORD src1_sel:WORD_1
	v_mul_f16_sdwa v200, v192, v102 dst_sel:DWORD dst_unused:UNUSED_PAD src0_sel:DWORD src1_sel:WORD_1
	v_fma_f16 v192, v192, v102, v202
	v_lshrrev_b32_e32 v202, 16, v213
	v_fma_f16 v200, v211, v102, -v200
	v_mul_f16_sdwa v203, v202, v103 dst_sel:DWORD dst_unused:UNUSED_PAD src0_sel:DWORD src1_sel:WORD_1
	v_add_f16_e32 v191, v208, v191
	v_add_f16_e32 v193, v197, v193
	v_fma_f16 v203, v213, v103, -v203
	v_mul_f16_sdwa v204, v213, v103 dst_sel:DWORD dst_unused:UNUSED_PAD src0_sel:DWORD src1_sel:WORD_1
	v_add_f16_e32 v191, v191, v194
	v_add_f16_e32 v193, v193, v195
	v_lshrrev_b32_e32 v195, 16, v209
	v_add_f16_e32 v197, v209, v200
	v_fma_f16 v202, v202, v103, v204
	v_pack_b32_f16 v191, v191, v193
	v_add_f16_e32 v193, v197, v203
	v_add_f16_e32 v197, v195, v192
	;; [unrolled: 1-line block ×3, first 2 shown]
	v_pack_b32_f16 v193, v193, v197
	v_add_f16_e32 v194, v200, v203
	ds_write2_b32 v149, v191, v193 offset0:136 offset1:217
	v_fma_f16 v191, v199, s1, v196
	v_sub_f16_e32 v196, v192, v202
	v_add_f16_e32 v192, v192, v202
	v_fma_f16 v194, v194, -0.5, v209
	v_fma_f16 v193, v201, s0, v198
	v_fma_f16 v192, v192, -0.5, v195
	v_sub_f16_e32 v195, v200, v203
	v_pack_b32_f16 v191, v191, v193
	v_fma_f16 v193, v196, s1, v194
	v_fma_f16 v197, v195, s0, v192
	v_pack_b32_f16 v193, v193, v197
	ds_write2_b32 v121, v191, v193 offset0:92 offset1:173
	v_fma_f16 v191, v196, s0, v194
	v_fma_f16 v192, v195, s1, v192
	v_pack_b32_f16 v191, v191, v192
	ds_write_b32 v0, v191 offset:6156
	s_waitcnt lgkmcnt(0)
	s_barrier
	global_load_dword v17, v[16:17], off offset:1528
	s_movk_i32 s2, 0x25f8
	v_add_co_u32_e32 v191, vcc, s2, v104
	v_addc_co_u32_e32 v192, vcc, 0, v105, vcc
	global_load_dword v16, v[191:192], off offset:1620
	global_load_dword v201, v[191:192], off offset:1944
	;; [unrolled: 1-line block ×7, first 2 shown]
	s_movk_i32 s2, 0x3000
	v_add_co_u32_e32 v195, vcc, s2, v104
	ds_read2_b32 v[193:194], v0 offset1:81
	global_load_dword v207, v[191:192], off offset:2268
	global_load_dword v208, v[191:192], off offset:648
	v_addc_co_u32_e32 v196, vcc, 0, v105, vcc
	global_load_dword v209, v[195:196], off offset:1968
	global_load_dword v210, v[195:196], off offset:2292
	;; [unrolled: 1-line block ×4, first 2 shown]
	s_waitcnt lgkmcnt(0)
	v_lshrrev_b32_e32 v197, 16, v193
	global_load_dword v214, v[195:196], off offset:2616
	s_movk_i32 s2, 0x4000
	v_add_co_u32_e32 v104, vcc, s2, v104
	v_addc_co_u32_e32 v105, vcc, 0, v105, vcc
	s_mov_b32 s2, 0xb4f2
	s_mov_b32 s3, 0xba79
	s_waitcnt vmcnt(14)
	v_mul_f16_sdwa v198, v193, v17 dst_sel:DWORD dst_unused:UNUSED_PAD src0_sel:DWORD src1_sel:WORD_1
	v_fma_f16 v198, v197, v17, v198
	v_mul_f16_sdwa v197, v197, v17 dst_sel:DWORD dst_unused:UNUSED_PAD src0_sel:DWORD src1_sel:WORD_1
	v_fma_f16 v17, v193, v17, -v197
	v_pack_b32_f16 v17, v17, v198
	ds_write_b32 v0, v17
	global_load_dword v17, v[191:192], off offset:3564
	ds_read2_b32 v[197:198], v0 offset0:162 offset1:243
	ds_read2_b32 v[199:200], v133 offset0:68 offset1:149
	global_load_dword v215, v[104:105], off offset:788
	global_load_dword v216, v[195:196], off offset:3912
	global_load_dword v217, v[195:196], off offset:2940
	global_load_dword v218, v[104:105], off offset:464
	global_load_dword v219, v[104:105], off offset:140
	global_load_dword v220, v[195:196], off offset:3588
	global_load_dword v221, v[195:196], off offset:3264
	s_waitcnt lgkmcnt(1)
	v_lshrrev_b32_e32 v193, 16, v198
	s_waitcnt vmcnt(19)
	v_mul_f16_sdwa v213, v198, v202 dst_sel:DWORD dst_unused:UNUSED_PAD src0_sel:DWORD src1_sel:WORD_1
	v_fma_f16 v195, v193, v202, v213
	v_mul_f16_sdwa v193, v193, v202 dst_sel:DWORD dst_unused:UNUSED_PAD src0_sel:DWORD src1_sel:WORD_1
	v_fma_f16 v193, v198, v202, -v193
	v_pack_b32_f16 v193, v193, v195
	s_waitcnt lgkmcnt(0)
	v_lshrrev_b32_e32 v195, 16, v199
	s_waitcnt vmcnt(18)
	v_mul_f16_sdwa v196, v199, v203 dst_sel:DWORD dst_unused:UNUSED_PAD src0_sel:DWORD src1_sel:WORD_1
	v_fma_f16 v198, v195, v203, v196
	v_mul_f16_sdwa v202, v195, v203 dst_sel:DWORD dst_unused:UNUSED_PAD src0_sel:DWORD src1_sel:WORD_1
	ds_read2_b32 v[195:196], v149 offset0:136 offset1:217
	v_fma_f16 v199, v199, v203, -v202
	global_load_dword v213, v[191:192], off offset:2592
	ds_read2_b32 v[191:192], v130 offset0:42 offset1:123
	v_pack_b32_f16 v198, v199, v198
	v_add_u32_e32 v199, 0x200, v0
	ds_write2_b32 v199, v193, v198 offset0:115 offset1:196
	s_waitcnt lgkmcnt(2)
	v_lshrrev_b32_e32 v193, 16, v196
	s_waitcnt vmcnt(18)
	v_mul_f16_sdwa v198, v196, v204 dst_sel:DWORD dst_unused:UNUSED_PAD src0_sel:DWORD src1_sel:WORD_1
	v_fma_f16 v198, v193, v204, v198
	v_mul_f16_sdwa v193, v193, v204 dst_sel:DWORD dst_unused:UNUSED_PAD src0_sel:DWORD src1_sel:WORD_1
	v_fma_f16 v193, v196, v204, -v193
	v_pack_b32_f16 v193, v193, v198
	s_waitcnt lgkmcnt(1)
	v_lshrrev_b32_e32 v196, 16, v191
	s_waitcnt vmcnt(17)
	v_mul_f16_sdwa v198, v191, v205 dst_sel:DWORD dst_unused:UNUSED_PAD src0_sel:DWORD src1_sel:WORD_1
	v_fma_f16 v198, v196, v205, v198
	v_mul_f16_sdwa v196, v196, v205 dst_sel:DWORD dst_unused:UNUSED_PAD src0_sel:DWORD src1_sel:WORD_1
	global_load_dword v204, v[104:105], off offset:1112
	v_fma_f16 v191, v191, v205, -v196
	v_pack_b32_f16 v191, v191, v198
	v_add_u32_e32 v196, 0xa00, v0
	ds_write2_b32 v196, v193, v191 offset0:89 offset1:170
	global_load_dword v196, v[104:105], off offset:1436
	ds_read2_b32 v[198:199], v150 offset0:102 offset1:183
	global_load_dword v222, v[104:105], off offset:2732
	global_load_dword v223, v[104:105], off offset:1760
	;; [unrolled: 1-line block ×4, first 2 shown]
	v_lshrrev_b32_e32 v191, 16, v194
	s_waitcnt vmcnt(22)
	v_mul_f16_sdwa v104, v191, v206 dst_sel:DWORD dst_unused:UNUSED_PAD src0_sel:DWORD src1_sel:WORD_1
	v_fma_f16 v226, v194, v206, -v104
	v_mul_f16_sdwa v104, v194, v206 dst_sel:DWORD dst_unused:UNUSED_PAD src0_sel:DWORD src1_sel:WORD_1
	v_fma_f16 v191, v191, v206, v104
	s_waitcnt lgkmcnt(0)
	v_lshrrev_b32_e32 v104, 16, v198
	v_mul_f16_sdwa v105, v198, v201 dst_sel:DWORD dst_unused:UNUSED_PAD src0_sel:DWORD src1_sel:WORD_1
	v_fma_f16 v206, v104, v201, v105
	v_mul_f16_sdwa v104, v104, v201 dst_sel:DWORD dst_unused:UNUSED_PAD src0_sel:DWORD src1_sel:WORD_1
	v_fma_f16 v227, v198, v201, -v104
	ds_read2_b32 v[104:105], v148 offset0:76 offset1:157
	v_lshrrev_b32_e32 v193, 16, v199
	s_waitcnt vmcnt(21)
	v_mul_f16_sdwa v194, v193, v207 dst_sel:DWORD dst_unused:UNUSED_PAD src0_sel:DWORD src1_sel:WORD_1
	v_fma_f16 v228, v199, v207, -v194
	v_mul_f16_sdwa v194, v199, v207 dst_sel:DWORD dst_unused:UNUSED_PAD src0_sel:DWORD src1_sel:WORD_1
	v_fma_f16 v207, v193, v207, v194
	s_waitcnt lgkmcnt(0)
	v_lshrrev_b32_e32 v193, 16, v104
	s_waitcnt vmcnt(16)
	v_mul_f16_sdwa v194, v104, v212 dst_sel:DWORD dst_unused:UNUSED_PAD src0_sel:DWORD src1_sel:WORD_1
	v_fma_f16 v229, v193, v212, v194
	v_mul_f16_sdwa v193, v193, v212 dst_sel:DWORD dst_unused:UNUSED_PAD src0_sel:DWORD src1_sel:WORD_1
	v_fma_f16 v212, v104, v212, -v193
	v_lshrrev_b32_e32 v104, 16, v105
	ds_read2_b32 v[193:194], v147 offset0:110 offset1:191
	v_mul_f16_sdwa v198, v104, v211 dst_sel:DWORD dst_unused:UNUSED_PAD src0_sel:DWORD src1_sel:WORD_1
	v_fma_f16 v230, v105, v211, -v198
	v_mul_f16_sdwa v105, v105, v211 dst_sel:DWORD dst_unused:UNUSED_PAD src0_sel:DWORD src1_sel:WORD_1
	v_fma_f16 v211, v104, v211, v105
	ds_read2_b32 v[104:105], v129 offset0:16 offset1:97
	s_waitcnt lgkmcnt(1)
	v_lshrrev_b32_e32 v198, 16, v194
	v_mul_f16_sdwa v199, v194, v210 dst_sel:DWORD dst_unused:UNUSED_PAD src0_sel:DWORD src1_sel:WORD_1
	v_fma_f16 v199, v198, v210, v199
	v_mul_f16_sdwa v198, v198, v210 dst_sel:DWORD dst_unused:UNUSED_PAD src0_sel:DWORD src1_sel:WORD_1
	v_fma_f16 v194, v194, v210, -v198
	s_waitcnt lgkmcnt(0)
	v_lshrrev_b32_e32 v201, 16, v104
	s_waitcnt vmcnt(15)
	v_mul_f16_sdwa v198, v104, v214 dst_sel:DWORD dst_unused:UNUSED_PAD src0_sel:DWORD src1_sel:WORD_1
	v_pack_b32_f16 v194, v194, v199
	v_fma_f16 v202, v201, v214, v198
	ds_read2_b32 v[198:199], v146 offset0:50 offset1:131
	v_mul_f16_sdwa v201, v201, v214 dst_sel:DWORD dst_unused:UNUSED_PAD src0_sel:DWORD src1_sel:WORD_1
	v_fma_f16 v104, v104, v214, -v201
	v_pack_b32_f16 v104, v104, v202
	ds_write2_b32 v190, v194, v104 offset0:63 offset1:144
	s_waitcnt lgkmcnt(1)
	v_lshrrev_b32_e32 v104, 16, v198
	s_waitcnt vmcnt(7)
	v_mul_f16_sdwa v194, v198, v221 dst_sel:DWORD dst_unused:UNUSED_PAD src0_sel:DWORD src1_sel:WORD_1
	v_fma_f16 v194, v104, v221, v194
	v_mul_f16_sdwa v104, v104, v221 dst_sel:DWORD dst_unused:UNUSED_PAD src0_sel:DWORD src1_sel:WORD_1
	v_fma_f16 v104, v198, v221, -v104
	v_lshrrev_b32_e32 v198, 16, v199
	ds_read2_b32 v[201:202], v145 offset0:84 offset1:165
	v_mul_f16_sdwa v203, v198, v220 dst_sel:DWORD dst_unused:UNUSED_PAD src0_sel:DWORD src1_sel:WORD_1
	v_fma_f16 v210, v199, v220, -v203
	v_mul_f16_sdwa v199, v199, v220 dst_sel:DWORD dst_unused:UNUSED_PAD src0_sel:DWORD src1_sel:WORD_1
	v_fma_f16 v214, v198, v220, v199
	ds_read2_b32 v[198:199], v126 offset0:118 offset1:199
	s_waitcnt lgkmcnt(1)
	v_lshrrev_b32_e32 v203, 16, v202
	v_mul_f16_sdwa v205, v202, v219 dst_sel:DWORD dst_unused:UNUSED_PAD src0_sel:DWORD src1_sel:WORD_1
	v_fma_f16 v205, v203, v219, v205
	v_mul_f16_sdwa v203, v203, v219 dst_sel:DWORD dst_unused:UNUSED_PAD src0_sel:DWORD src1_sel:WORD_1
	v_fma_f16 v202, v202, v219, -v203
	v_pack_b32_f16 v205, v202, v205
	s_waitcnt lgkmcnt(0)
	v_lshrrev_b32_e32 v219, 16, v198
	v_mul_f16_sdwa v202, v198, v218 dst_sel:DWORD dst_unused:UNUSED_PAD src0_sel:DWORD src1_sel:WORD_1
	v_fma_f16 v220, v219, v218, v202
	ds_read2_b32 v[202:203], v143 offset0:152 offset1:233
	v_mul_f16_sdwa v219, v219, v218 dst_sel:DWORD dst_unused:UNUSED_PAD src0_sel:DWORD src1_sel:WORD_1
	v_fma_f16 v198, v198, v218, -v219
	v_pack_b32_f16 v198, v198, v220
	ds_write2_b32 v145, v205, v198 offset0:165 offset1:246
	s_waitcnt lgkmcnt(1)
	v_lshrrev_b32_e32 v198, 16, v202
	v_pack_b32_f16 v191, v226, v191
	v_pack_b32_f16 v104, v104, v194
	s_waitcnt vmcnt(5)
	v_mul_f16_sdwa v205, v202, v204 dst_sel:DWORD dst_unused:UNUSED_PAD src0_sel:DWORD src1_sel:WORD_1
	v_fma_f16 v218, v198, v204, v205
	v_mul_f16_sdwa v198, v198, v204 dst_sel:DWORD dst_unused:UNUSED_PAD src0_sel:DWORD src1_sel:WORD_1
	v_fma_f16 v198, v202, v204, -v198
	v_lshrrev_b32_e32 v202, 16, v203
	ds_read2_b32 v[204:205], v140 offset0:58 offset1:139
	s_waitcnt vmcnt(4)
	v_mul_f16_sdwa v219, v202, v196 dst_sel:DWORD dst_unused:UNUSED_PAD src0_sel:DWORD src1_sel:WORD_1
	v_fma_f16 v219, v203, v196, -v219
	v_mul_f16_sdwa v203, v203, v196 dst_sel:DWORD dst_unused:UNUSED_PAD src0_sel:DWORD src1_sel:WORD_1
	v_fma_f16 v196, v202, v196, v203
	ds_read2_b32 v[202:203], v121 offset0:92 offset1:173
	s_waitcnt lgkmcnt(1)
	v_lshrrev_b32_e32 v220, 16, v205
	s_waitcnt vmcnt(0)
	v_mul_f16_sdwa v221, v205, v225 dst_sel:DWORD dst_unused:UNUSED_PAD src0_sel:DWORD src1_sel:WORD_1
	v_fma_f16 v221, v220, v225, v221
	v_mul_f16_sdwa v220, v220, v225 dst_sel:DWORD dst_unused:UNUSED_PAD src0_sel:DWORD src1_sel:WORD_1
	v_fma_f16 v205, v205, v225, -v220
	v_pack_b32_f16 v205, v205, v221
	s_waitcnt lgkmcnt(0)
	v_lshrrev_b32_e32 v220, 16, v202
	v_mul_f16_sdwa v221, v202, v224 dst_sel:DWORD dst_unused:UNUSED_PAD src0_sel:DWORD src1_sel:WORD_1
	v_fma_f16 v221, v220, v224, v221
	v_mul_f16_sdwa v220, v220, v224 dst_sel:DWORD dst_unused:UNUSED_PAD src0_sel:DWORD src1_sel:WORD_1
	v_fma_f16 v202, v202, v224, -v220
	v_pack_b32_f16 v202, v202, v221
	ds_write2_b32 v140, v205, v202 offset0:139 offset1:220
	v_lshrrev_b32_e32 v202, 16, v197
	v_mul_f16_sdwa v205, v202, v208 dst_sel:DWORD dst_unused:UNUSED_PAD src0_sel:DWORD src1_sel:WORD_1
	v_fma_f16 v205, v197, v208, -v205
	v_mul_f16_sdwa v197, v197, v208 dst_sel:DWORD dst_unused:UNUSED_PAD src0_sel:DWORD src1_sel:WORD_1
	v_fma_f16 v197, v202, v208, v197
	v_pack_b32_f16 v197, v205, v197
	ds_write2_b32 v0, v191, v197 offset0:81 offset1:162
	v_lshrrev_b32_e32 v191, 16, v200
	v_mul_f16_sdwa v197, v191, v16 dst_sel:DWORD dst_unused:UNUSED_PAD src0_sel:DWORD src1_sel:WORD_1
	v_fma_f16 v197, v200, v16, -v197
	v_mul_f16_sdwa v200, v200, v16 dst_sel:DWORD dst_unused:UNUSED_PAD src0_sel:DWORD src1_sel:WORD_1
	v_fma_f16 v16, v191, v16, v200
	v_pack_b32_f16 v191, v227, v206
	v_pack_b32_f16 v16, v197, v16
	ds_write2_b32 v133, v16, v191 offset0:149 offset1:230
	v_lshrrev_b32_e32 v16, 16, v195
	v_mul_f16_sdwa v191, v16, v213 dst_sel:DWORD dst_unused:UNUSED_PAD src0_sel:DWORD src1_sel:WORD_1
	v_fma_f16 v191, v195, v213, -v191
	v_mul_f16_sdwa v195, v195, v213 dst_sel:DWORD dst_unused:UNUSED_PAD src0_sel:DWORD src1_sel:WORD_1
	v_fma_f16 v16, v16, v213, v195
	v_pack_b32_f16 v195, v228, v207
	;; [unrolled: 8-line block ×3, first 2 shown]
	v_pack_b32_f16 v16, v191, v16
	ds_write2_b32 v130, v16, v17 offset0:123 offset1:204
	v_lshrrev_b32_e32 v16, 16, v193
	v_mul_f16_sdwa v17, v16, v209 dst_sel:DWORD dst_unused:UNUSED_PAD src0_sel:DWORD src1_sel:WORD_1
	v_mul_f16_sdwa v191, v193, v209 dst_sel:DWORD dst_unused:UNUSED_PAD src0_sel:DWORD src1_sel:WORD_1
	v_fma_f16 v17, v193, v209, -v17
	v_fma_f16 v16, v16, v209, v191
	v_pack_b32_f16 v191, v230, v211
	v_pack_b32_f16 v16, v17, v16
	ds_write2_b32 v147, v191, v16 offset0:29 offset1:110
	v_lshrrev_b32_e32 v16, 16, v105
	v_mul_f16_sdwa v17, v16, v217 dst_sel:DWORD dst_unused:UNUSED_PAD src0_sel:DWORD src1_sel:WORD_1
	v_fma_f16 v17, v105, v217, -v17
	v_mul_f16_sdwa v105, v105, v217 dst_sel:DWORD dst_unused:UNUSED_PAD src0_sel:DWORD src1_sel:WORD_1
	v_fma_f16 v16, v16, v217, v105
	v_pack_b32_f16 v16, v17, v16
	ds_write2_b32 v129, v16, v104 offset0:97 offset1:178
	v_lshrrev_b32_e32 v16, 16, v201
	v_mul_f16_sdwa v17, v16, v216 dst_sel:DWORD dst_unused:UNUSED_PAD src0_sel:DWORD src1_sel:WORD_1
	v_mul_f16_sdwa v104, v201, v216 dst_sel:DWORD dst_unused:UNUSED_PAD src0_sel:DWORD src1_sel:WORD_1
	v_fma_f16 v17, v201, v216, -v17
	v_fma_f16 v16, v16, v216, v104
	v_pack_b32_f16 v104, v210, v214
	v_pack_b32_f16 v16, v17, v16
	ds_write2_b32 v145, v104, v16 offset0:3 offset1:84
	v_lshrrev_b32_e32 v16, 16, v199
	v_mul_f16_sdwa v17, v16, v215 dst_sel:DWORD dst_unused:UNUSED_PAD src0_sel:DWORD src1_sel:WORD_1
	v_mul_f16_sdwa v104, v199, v215 dst_sel:DWORD dst_unused:UNUSED_PAD src0_sel:DWORD src1_sel:WORD_1
	v_fma_f16 v17, v199, v215, -v17
	v_fma_f16 v16, v16, v215, v104
	v_pack_b32_f16 v104, v198, v218
	;; [unrolled: 8-line block ×4, first 2 shown]
	ds_write_b32 v0, v16 offset:9396
	s_waitcnt lgkmcnt(0)
	s_barrier
	ds_read2_b32 v[16:17], v146 offset0:50 offset1:131
	ds_read2_b32 v[104:105], v143 offset0:152 offset1:233
	;; [unrolled: 1-line block ×4, first 2 shown]
	ds_read2_b32 v[195:196], v0 offset1:81
	s_waitcnt lgkmcnt(3)
	v_sub_f16_e32 v197, v16, v104
	s_waitcnt lgkmcnt(2)
	v_sub_f16_sdwa v221, v191, v104 dst_sel:DWORD dst_unused:UNUSED_PAD src0_sel:WORD_1 src1_sel:WORD_1
	s_waitcnt lgkmcnt(1)
	v_sub_f16_e32 v198, v193, v191
	v_add_f16_e32 v197, v198, v197
	v_add_f16_e32 v198, v191, v104
	s_waitcnt lgkmcnt(0)
	v_fma_f16 v198, v198, -0.5, v195
	v_sub_f16_sdwa v222, v193, v16 dst_sel:DWORD dst_unused:UNUSED_PAD src0_sel:WORD_1 src1_sel:WORD_1
	v_fma_f16 v199, v222, s7, v198
	v_fma_f16 v198, v222, s13, v198
	v_fma_f16 v199, v221, s14, v199
	v_fma_f16 v198, v221, s6, v198
	v_fma_f16 v223, v197, s12, v199
	v_fma_f16 v224, v197, s12, v198
	v_sub_f16_sdwa v197, v193, v191 dst_sel:DWORD dst_unused:UNUSED_PAD src0_sel:WORD_1 src1_sel:WORD_1
	v_sub_f16_sdwa v198, v16, v104 dst_sel:DWORD dst_unused:UNUSED_PAD src0_sel:WORD_1 src1_sel:WORD_1
	v_add_f16_e32 v205, v197, v198
	v_lshrrev_b32_e32 v209, 16, v195
	v_add_f16_sdwa v197, v191, v104 dst_sel:DWORD dst_unused:UNUSED_PAD src0_sel:WORD_1 src1_sel:WORD_1
	v_fma_f16 v197, v197, -0.5, v209
	v_sub_f16_e32 v226, v193, v16
	v_sub_f16_e32 v225, v191, v104
	v_fma_f16 v198, v226, s13, v197
	v_fma_f16 v198, v225, s6, v198
	;; [unrolled: 1-line block ×4, first 2 shown]
	ds_read2_b32 v[197:198], v145 offset0:84 offset1:165
	ds_read2_b32 v[199:200], v140 offset0:58 offset1:139
	;; [unrolled: 1-line block ×4, first 2 shown]
	v_fma_f16 v206, v225, s14, v206
	v_fma_f16 v228, v205, s12, v206
	ds_read2_b32 v[205:206], v0 offset0:162 offset1:243
	s_waitcnt lgkmcnt(3)
	v_sub_f16_e32 v207, v198, v200
	s_waitcnt lgkmcnt(1)
	v_sub_f16_e32 v208, v204, v202
	v_add_f16_e32 v207, v208, v207
	v_add_f16_e32 v208, v202, v200
	s_waitcnt lgkmcnt(0)
	v_fma_f16 v208, v208, -0.5, v206
	v_sub_f16_sdwa v230, v204, v198 dst_sel:DWORD dst_unused:UNUSED_PAD src0_sel:WORD_1 src1_sel:WORD_1
	v_sub_f16_sdwa v229, v202, v200 dst_sel:DWORD dst_unused:UNUSED_PAD src0_sel:WORD_1 src1_sel:WORD_1
	v_fma_f16 v210, v230, s7, v208
	v_fma_f16 v208, v230, s13, v208
	;; [unrolled: 1-line block ×6, first 2 shown]
	v_sub_f16_sdwa v208, v204, v202 dst_sel:DWORD dst_unused:UNUSED_PAD src0_sel:WORD_1 src1_sel:WORD_1
	v_sub_f16_sdwa v211, v198, v200 dst_sel:DWORD dst_unused:UNUSED_PAD src0_sel:WORD_1 src1_sel:WORD_1
	v_add_f16_e32 v208, v208, v211
	v_lshrrev_b32_e32 v211, 16, v206
	v_add_f16_sdwa v212, v202, v200 dst_sel:DWORD dst_unused:UNUSED_PAD src0_sel:WORD_1 src1_sel:WORD_1
	v_fma_f16 v212, v212, -0.5, v211
	v_sub_f16_e32 v232, v204, v198
	v_sub_f16_e32 v231, v202, v200
	v_fma_f16 v213, v232, s13, v212
	v_fma_f16 v213, v231, s6, v213
	v_fma_f16 v212, v232, s7, v212
	v_fma_f16 v213, v208, s12, v213
	v_fma_f16 v212, v231, s14, v212
	v_fma_f16 v208, v208, s12, v212
	v_mul_f16_e32 v212, 0xbb9c, v213
	v_fma_f16 v233, v210, s12, v212
	v_mul_f16_e32 v212, 0x34f2, v213
	v_fma_f16 v234, v210, s7, v212
	v_mul_f16_e32 v210, 0xbb9c, v208
	v_mul_f16_e32 v208, 0xb4f2, v208
	v_fma_f16 v235, v207, s2, v210
	v_fma_f16 v236, v207, s7, v208
	v_add_f16_e32 v207, v224, v235
	v_add_f16_e32 v208, v228, v236
	v_pack_b32_f16 v208, v207, v208
	v_add_f16_e32 v207, v223, v233
	v_add_f16_e32 v210, v227, v234
	v_pack_b32_f16 v207, v207, v210
	v_sub_f16_e32 v210, v104, v16
	v_sub_f16_e32 v212, v191, v193
	v_add_f16_e32 v237, v212, v210
	v_add_f16_sdwa v210, v193, v16 dst_sel:DWORD dst_unused:UNUSED_PAD src0_sel:WORD_1 src1_sel:WORD_1
	v_fma_f16 v238, v210, -0.5, v209
	v_sub_f16_sdwa v209, v191, v193 dst_sel:DWORD dst_unused:UNUSED_PAD src0_sel:WORD_1 src1_sel:WORD_1
	v_sub_f16_sdwa v210, v104, v16 dst_sel:DWORD dst_unused:UNUSED_PAD src0_sel:WORD_1 src1_sel:WORD_1
	v_add_f16_e32 v239, v209, v210
	v_sub_f16_e32 v209, v200, v198
	v_sub_f16_e32 v210, v202, v204
	v_add_f16_e32 v240, v210, v209
	v_add_f16_sdwa v209, v204, v198 dst_sel:DWORD dst_unused:UNUSED_PAD src0_sel:WORD_1 src1_sel:WORD_1
	v_fma_f16 v241, v209, -0.5, v211
	v_sub_f16_sdwa v209, v202, v204 dst_sel:DWORD dst_unused:UNUSED_PAD src0_sel:WORD_1 src1_sel:WORD_1
	v_sub_f16_sdwa v210, v200, v198 dst_sel:DWORD dst_unused:UNUSED_PAD src0_sel:WORD_1 src1_sel:WORD_1
	v_add_f16_e32 v242, v209, v210
	v_add_f16_e32 v209, v204, v198
	v_fma_f16 v243, v209, -0.5, v206
	v_fma_f16 v210, v231, s7, v241
	v_fma_f16 v209, v229, s13, v243
	;; [unrolled: 1-line block ×6, first 2 shown]
	v_mul_f16_e32 v211, 0xb8b4, v210
	v_fma_f16 v244, v209, s15, v211
	v_mul_f16_e32 v209, 0x38b4, v209
	v_pk_add_f16 v191, v195, v191
	v_fma_f16 v245, v210, s15, v209
	v_add_f16_e32 v209, v193, v16
	v_pk_add_f16 v191, v191, v193
	v_fma_f16 v246, v209, -0.5, v195
	v_pk_add_f16 v16, v191, v16
	v_fma_f16 v209, v221, s13, v246
	v_pk_add_f16 v16, v16, v104
	v_fma_f16 v104, v225, s7, v238
	;; [unrolled: 2-line block ×3, first 2 shown]
	v_fma_f16 v104, v226, s6, v104
	v_pk_add_f16 v191, v191, v204
	v_fma_f16 v247, v237, s12, v209
	v_fma_f16 v104, v239, s12, v104
	v_pk_add_f16 v191, v191, v198
	v_pk_add_f16 v191, v191, v200
	v_add_f16_e32 v193, v247, v244
	v_add_f16_e32 v195, v104, v245
	v_pack_b32_f16 v210, v193, v195
	v_pk_add_f16 v209, v16, v191
	v_sub_f16_e32 v195, v223, v233
	v_sub_f16_e32 v198, v227, v234
	ds_read2_b32 v[211:212], v133 offset0:68 offset1:149
	ds_read2_b32 v[213:214], v130 offset0:42 offset1:123
	;; [unrolled: 1-line block ×5, first 2 shown]
	s_waitcnt lgkmcnt(0)
	s_barrier
	ds_write2_b64 v152, v[209:210], v[207:208] offset1:1
	v_pack_b32_f16 v207, v195, v198
	v_fma_f16 v198, v231, s13, v241
	v_sub_f16_e32 v193, v247, v244
	v_sub_f16_e32 v104, v104, v245
	v_fma_f16 v195, v229, s7, v243
	v_fma_f16 v198, v232, s14, v198
	v_pack_b32_f16 v206, v193, v104
	v_fma_f16 v104, v221, s7, v246
	v_fma_f16 v193, v225, s13, v238
	;; [unrolled: 1-line block ×7, first 2 shown]
	v_mul_f16_e32 v200, 0xb8b4, v198
	v_mul_f16_e32 v198, 0xba79, v198
	v_fma_f16 v104, v237, s12, v104
	v_fma_f16 v193, v239, s12, v193
	;; [unrolled: 1-line block ×4, first 2 shown]
	v_pk_add_f16 v209, v16, v191 neg_lo:[0,1] neg_hi:[0,1]
	v_add_f16_e32 v16, v104, v200
	v_add_f16_e32 v191, v193, v195
	v_pack_b32_f16 v208, v16, v191
	v_sub_f16_e32 v16, v224, v235
	v_sub_f16_e32 v191, v228, v236
	ds_write2_b64 v152, v[208:209], v[206:207] offset0:2 offset1:3
	v_pack_b32_f16 v206, v16, v191
	v_pk_add_f16 v16, v196, v192
	v_sub_f16_e32 v104, v104, v200
	v_sub_f16_e32 v193, v193, v195
	v_pk_add_f16 v16, v16, v194
	v_pack_b32_f16 v207, v104, v193
	v_add_f16_e32 v204, v192, v105
	v_pk_add_f16 v16, v16, v17
	ds_write_b64 v152, v[206:207] offset:32
	v_add_f16_e32 v104, v194, v17
	v_sub_f16_sdwa v152, v194, v17 dst_sel:DWORD dst_unused:UNUSED_PAD src0_sel:WORD_1 src1_sel:WORD_1
	v_sub_f16_e32 v191, v192, v194
	v_sub_f16_e32 v193, v194, v192
	v_add_f16_sdwa v195, v194, v17 dst_sel:DWORD dst_unused:UNUSED_PAD src0_sel:WORD_1 src1_sel:WORD_1
	v_sub_f16_e32 v198, v194, v17
	v_sub_f16_sdwa v200, v192, v194 dst_sel:DWORD dst_unused:UNUSED_PAD src0_sel:WORD_1 src1_sel:WORD_1
	v_sub_f16_sdwa v194, v194, v192 dst_sel:DWORD dst_unused:UNUSED_PAD src0_sel:WORD_1 src1_sel:WORD_1
	;; [unrolled: 1-line block ×3, first 2 shown]
	v_sub_f16_e32 v206, v192, v105
	v_add_f16_sdwa v192, v192, v105 dst_sel:DWORD dst_unused:UNUSED_PAD src0_sel:WORD_1 src1_sel:WORD_1
	v_sub_f16_e32 v207, v105, v17
	v_sub_f16_e32 v208, v17, v105
	v_sub_f16_sdwa v209, v105, v17 dst_sel:DWORD dst_unused:UNUSED_PAD src0_sel:WORD_1 src1_sel:WORD_1
	v_sub_f16_sdwa v17, v17, v105 dst_sel:DWORD dst_unused:UNUSED_PAD src0_sel:WORD_1 src1_sel:WORD_1
	v_pk_add_f16 v210, v16, v105
	v_fma_f16 v105, v204, -0.5, v196
	v_add_f16_e32 v16, v193, v208
	v_fma_f16 v193, v152, s7, v105
	v_fma_f16 v105, v152, s13, v105
	;; [unrolled: 1-line block ×4, first 2 shown]
	v_fma_f16 v208, v104, -0.5, v196
	v_lshrrev_b32_e32 v104, 16, v196
	v_fma_f16 v193, v16, s12, v193
	v_fma_f16 v204, v16, s12, v105
	v_add_f16_e32 v16, v194, v17
	v_fma_f16 v17, v192, -0.5, v104
	v_fma_f16 v105, v198, s13, v17
	v_fma_f16 v17, v198, s7, v17
	;; [unrolled: 1-line block ×6, first 2 shown]
	v_sub_f16_e32 v16, v217, v219
	v_sub_f16_e32 v17, v215, v213
	v_add_f16_e32 v16, v17, v16
	v_add_f16_e32 v17, v213, v219
	v_fma_f16 v17, v17, -0.5, v211
	v_sub_f16_sdwa v221, v215, v217 dst_sel:DWORD dst_unused:UNUSED_PAD src0_sel:WORD_1 src1_sel:WORD_1
	v_sub_f16_sdwa v196, v213, v219 dst_sel:DWORD dst_unused:UNUSED_PAD src0_sel:WORD_1 src1_sel:WORD_1
	v_fma_f16 v105, v221, s7, v17
	v_fma_f16 v17, v221, s13, v17
	;; [unrolled: 1-line block ×6, first 2 shown]
	v_sub_f16_sdwa v17, v215, v213 dst_sel:DWORD dst_unused:UNUSED_PAD src0_sel:WORD_1 src1_sel:WORD_1
	v_sub_f16_sdwa v222, v217, v219 dst_sel:DWORD dst_unused:UNUSED_PAD src0_sel:WORD_1 src1_sel:WORD_1
	v_add_f16_e32 v17, v17, v222
	v_lshrrev_b32_e32 v222, 16, v211
	v_add_f16_sdwa v223, v213, v219 dst_sel:DWORD dst_unused:UNUSED_PAD src0_sel:WORD_1 src1_sel:WORD_1
	v_fma_f16 v223, v223, -0.5, v222
	v_sub_f16_e32 v225, v215, v217
	v_sub_f16_e32 v224, v213, v219
	v_fma_f16 v226, v225, s13, v223
	v_fma_f16 v226, v224, s6, v226
	;; [unrolled: 1-line block ×6, first 2 shown]
	v_mul_f16_e32 v223, 0xbb9c, v226
	v_mul_f16_e32 v226, 0x34f2, v226
	v_fma_f16 v223, v105, s12, v223
	v_fma_f16 v226, v105, s7, v226
	v_mul_f16_e32 v105, 0xbb9c, v17
	v_mul_f16_e32 v17, 0xb4f2, v17
	v_fma_f16 v227, v16, s2, v105
	v_fma_f16 v228, v16, s7, v17
	v_add_f16_e32 v16, v204, v227
	v_add_f16_e32 v17, v194, v228
	v_pack_b32_f16 v17, v16, v17
	v_add_f16_e32 v16, v193, v223
	v_add_f16_e32 v105, v192, v226
	v_pack_b32_f16 v16, v16, v105
	v_fma_f16 v195, v195, -0.5, v104
	v_sub_f16_e32 v104, v219, v217
	v_sub_f16_e32 v105, v213, v215
	v_add_f16_e32 v191, v191, v207
	v_add_f16_e32 v207, v105, v104
	v_add_f16_sdwa v104, v215, v217 dst_sel:DWORD dst_unused:UNUSED_PAD src0_sel:WORD_1 src1_sel:WORD_1
	v_add_f16_e32 v200, v200, v209
	v_fma_f16 v209, v104, -0.5, v222
	v_sub_f16_sdwa v104, v213, v215 dst_sel:DWORD dst_unused:UNUSED_PAD src0_sel:WORD_1 src1_sel:WORD_1
	v_sub_f16_sdwa v105, v219, v217 dst_sel:DWORD dst_unused:UNUSED_PAD src0_sel:WORD_1 src1_sel:WORD_1
	v_add_f16_e32 v222, v104, v105
	v_add_f16_e32 v104, v215, v217
	v_fma_f16 v229, v104, -0.5, v211
	v_fma_f16 v105, v224, s7, v209
	v_fma_f16 v104, v196, s13, v229
	;; [unrolled: 1-line block ×6, first 2 shown]
	v_mul_f16_e32 v230, 0xb8b4, v105
	v_fma_f16 v230, v104, s15, v230
	v_mul_f16_e32 v104, 0x38b4, v104
	v_fma_f16 v231, v105, s15, v104
	v_fma_f16 v104, v202, s13, v208
	v_fma_f16 v104, v152, s14, v104
	v_fma_f16 v232, v191, s12, v104
	v_fma_f16 v104, v206, s7, v195
	v_fma_f16 v104, v198, s6, v104
	v_fma_f16 v233, v200, s12, v104
	v_pk_add_f16 v104, v211, v213
	v_pk_add_f16 v104, v104, v215
	;; [unrolled: 1-line block ×4, first 2 shown]
	v_add_f16_e32 v104, v232, v230
	v_add_f16_e32 v105, v233, v231
	v_pack_b32_f16 v105, v104, v105
	v_pk_add_f16 v104, v210, v211
	ds_write2_b64 v153, v[104:105], v[16:17] offset1:1
	v_sub_f16_e32 v16, v232, v230
	v_sub_f16_e32 v104, v233, v231
	v_pack_b32_f16 v16, v16, v104
	v_fma_f16 v104, v202, s7, v208
	v_fma_f16 v104, v152, s6, v104
	v_sub_f16_e32 v17, v193, v223
	v_sub_f16_e32 v105, v192, v226
	v_fma_f16 v152, v191, s12, v104
	v_fma_f16 v104, v206, s13, v195
	v_pack_b32_f16 v17, v17, v105
	v_fma_f16 v104, v198, s14, v104
	v_fma_f16 v105, v224, s13, v209
	;; [unrolled: 1-line block ×8, first 2 shown]
	v_mul_f16_e32 v192, 0xb8b4, v105
	v_mul_f16_e32 v105, 0xba79, v105
	v_fma_f16 v192, v104, s3, v192
	v_fma_f16 v193, v104, s6, v105
	v_add_f16_e32 v104, v152, v192
	v_add_f16_e32 v195, v191, v193
	v_pk_add_f16 v105, v210, v211 neg_lo:[0,1] neg_hi:[0,1]
	v_pack_b32_f16 v104, v104, v195
	ds_write2_b64 v153, v[104:105], v[16:17] offset0:2 offset1:3
	v_sub_f16_e32 v16, v204, v227
	v_sub_f16_e32 v17, v152, v192
	;; [unrolled: 1-line block ×4, first 2 shown]
	v_pack_b32_f16 v17, v17, v105
	v_pack_b32_f16 v16, v16, v104
	ds_write_b64 v153, v[16:17] offset:32
	v_pk_add_f16 v16, v205, v201
	v_pk_add_f16 v16, v16, v203
	;; [unrolled: 1-line block ×3, first 2 shown]
	v_add_f16_e32 v17, v203, v197
	v_sub_f16_sdwa v152, v203, v197 dst_sel:DWORD dst_unused:UNUSED_PAD src0_sel:WORD_1 src1_sel:WORD_1
	v_sub_f16_e32 v104, v201, v203
	v_sub_f16_e32 v105, v203, v201
	v_add_f16_sdwa v153, v203, v197 dst_sel:DWORD dst_unused:UNUSED_PAD src0_sel:WORD_1 src1_sel:WORD_1
	v_sub_f16_e32 v191, v203, v197
	v_sub_f16_sdwa v192, v201, v203 dst_sel:DWORD dst_unused:UNUSED_PAD src0_sel:WORD_1 src1_sel:WORD_1
	v_sub_f16_sdwa v193, v203, v201 dst_sel:DWORD dst_unused:UNUSED_PAD src0_sel:WORD_1 src1_sel:WORD_1
	;; [unrolled: 1-line block ×3, first 2 shown]
	v_add_f16_e32 v195, v201, v199
	v_sub_f16_e32 v196, v201, v199
	v_add_f16_sdwa v198, v201, v199 dst_sel:DWORD dst_unused:UNUSED_PAD src0_sel:WORD_1 src1_sel:WORD_1
	v_sub_f16_e32 v200, v199, v197
	v_sub_f16_e32 v201, v197, v199
	v_sub_f16_sdwa v202, v199, v197 dst_sel:DWORD dst_unused:UNUSED_PAD src0_sel:WORD_1 src1_sel:WORD_1
	v_sub_f16_sdwa v197, v197, v199 dst_sel:DWORD dst_unused:UNUSED_PAD src0_sel:WORD_1 src1_sel:WORD_1
	v_pk_add_f16 v199, v16, v199
	v_pk_add_f16 v16, v212, v214
	;; [unrolled: 1-line block ×4, first 2 shown]
	v_add_f16_e32 v203, v216, v218
	v_sub_f16_sdwa v204, v216, v218 dst_sel:DWORD dst_unused:UNUSED_PAD src0_sel:WORD_1 src1_sel:WORD_1
	v_sub_f16_e32 v206, v214, v216
	v_sub_f16_e32 v207, v216, v214
	v_add_f16_sdwa v208, v216, v218 dst_sel:DWORD dst_unused:UNUSED_PAD src0_sel:WORD_1 src1_sel:WORD_1
	v_sub_f16_e32 v209, v216, v218
	v_sub_f16_sdwa v210, v214, v216 dst_sel:DWORD dst_unused:UNUSED_PAD src0_sel:WORD_1 src1_sel:WORD_1
	v_sub_f16_sdwa v211, v216, v214 dst_sel:DWORD dst_unused:UNUSED_PAD src0_sel:WORD_1 src1_sel:WORD_1
	v_sub_f16_sdwa v213, v214, v220 dst_sel:DWORD dst_unused:UNUSED_PAD src0_sel:WORD_1 src1_sel:WORD_1
	v_add_f16_e32 v215, v214, v220
	v_sub_f16_e32 v216, v214, v220
	v_add_f16_sdwa v214, v214, v220 dst_sel:DWORD dst_unused:UNUSED_PAD src0_sel:WORD_1 src1_sel:WORD_1
	v_sub_f16_e32 v217, v220, v218
	v_sub_f16_e32 v219, v218, v220
	v_sub_f16_sdwa v221, v220, v218 dst_sel:DWORD dst_unused:UNUSED_PAD src0_sel:WORD_1 src1_sel:WORD_1
	v_sub_f16_sdwa v218, v218, v220 dst_sel:DWORD dst_unused:UNUSED_PAD src0_sel:WORD_1 src1_sel:WORD_1
	v_pk_add_f16 v220, v16, v220
	v_add_f16_e32 v16, v105, v201
	v_fma_f16 v105, v195, -0.5, v205
	v_fma_f16 v195, v152, s7, v105
	v_fma_f16 v105, v152, s13, v105
	v_fma_f16 v105, v194, s6, v105
	v_fma_f16 v201, v16, s12, v105
	v_lshrrev_b32_e32 v105, 16, v205
	v_fma_f16 v195, v194, s14, v195
	v_fma_f16 v222, v17, -0.5, v205
	v_fma_f16 v17, v198, -0.5, v105
	v_fma_f16 v195, v16, s12, v195
	v_add_f16_e32 v16, v193, v197
	v_fma_f16 v193, v191, s13, v17
	v_fma_f16 v17, v191, s7, v17
	;; [unrolled: 1-line block ×4, first 2 shown]
	v_fma_f16 v17, v215, -0.5, v212
	v_fma_f16 v193, v196, s6, v193
	v_fma_f16 v198, v204, s7, v17
	;; [unrolled: 1-line block ×3, first 2 shown]
	v_lshrrev_b32_e32 v205, 16, v212
	v_fma_f16 v193, v16, s12, v193
	v_add_f16_e32 v16, v207, v219
	v_fma_f16 v198, v213, s14, v198
	v_fma_f16 v17, v213, s6, v17
	v_fma_f16 v207, v214, -0.5, v205
	v_fma_f16 v198, v16, s12, v198
	v_fma_f16 v16, v16, s12, v17
	v_add_f16_e32 v17, v211, v218
	v_fma_f16 v211, v209, s13, v207
	v_fma_f16 v205, v208, -0.5, v205
	v_fma_f16 v203, v203, -0.5, v212
	v_fma_f16 v211, v216, s6, v211
	v_fma_f16 v207, v209, s7, v207
	v_fma_f16 v153, v153, -0.5, v105
	v_fma_f16 v105, v216, s7, v205
	v_fma_f16 v211, v17, s12, v211
	;; [unrolled: 1-line block ×3, first 2 shown]
	v_add_f16_e32 v200, v104, v200
	v_add_f16_e32 v192, v192, v202
	v_add_f16_e32 v202, v206, v217
	v_add_f16_e32 v206, v210, v221
	v_fma_f16 v104, v213, s13, v203
	v_fma_f16 v105, v209, s6, v105
	;; [unrolled: 1-line block ×3, first 2 shown]
	v_mul_f16_e32 v207, 0xbb9c, v211
	v_mul_f16_e32 v211, 0x34f2, v211
	v_fma_f16 v104, v204, s14, v104
	v_fma_f16 v105, v206, s12, v105
	;; [unrolled: 1-line block ×4, first 2 shown]
	v_mul_f16_e32 v211, 0xbb9c, v17
	v_mul_f16_e32 v17, 0xb4f2, v17
	v_fma_f16 v104, v202, s12, v104
	v_mul_f16_e32 v208, 0xb8b4, v105
	v_fma_f16 v211, v16, s2, v211
	v_fma_f16 v212, v16, s7, v17
	v_fma_f16 v208, v104, s15, v208
	v_mul_f16_e32 v104, 0x38b4, v104
	v_add_f16_e32 v16, v201, v211
	v_add_f16_e32 v17, v197, v212
	v_fma_f16 v210, v105, s15, v104
	v_fma_f16 v104, v194, s13, v222
	v_pack_b32_f16 v17, v16, v17
	v_add_f16_e32 v16, v195, v207
	v_add_f16_e32 v214, v193, v198
	v_fma_f16 v104, v152, s14, v104
	v_pack_b32_f16 v16, v16, v214
	v_fma_f16 v214, v200, s12, v104
	v_fma_f16 v104, v196, s7, v153
	v_fma_f16 v104, v191, s6, v104
	v_fma_f16 v215, v192, s12, v104
	v_add_f16_e32 v104, v214, v208
	v_add_f16_e32 v105, v215, v210
	v_pack_b32_f16 v105, v104, v105
	v_pk_add_f16 v104, v199, v220
	ds_write2_b64 v154, v[104:105], v[16:17] offset1:1
	v_sub_f16_e32 v16, v214, v208
	v_sub_f16_e32 v104, v215, v210
	v_pack_b32_f16 v16, v16, v104
	v_fma_f16 v104, v194, s7, v222
	v_fma_f16 v104, v152, s6, v104
	v_sub_f16_e32 v17, v195, v207
	v_sub_f16_e32 v105, v193, v198
	v_fma_f16 v152, v200, s12, v104
	v_fma_f16 v104, v196, s13, v153
	v_pack_b32_f16 v17, v17, v105
	v_fma_f16 v104, v191, s14, v104
	v_fma_f16 v105, v216, s13, v205
	v_fma_f16 v153, v192, s12, v104
	v_fma_f16 v104, v213, s7, v203
	v_fma_f16 v105, v209, s14, v105
	v_fma_f16 v104, v204, s6, v104
	v_fma_f16 v105, v206, s12, v105
	v_fma_f16 v104, v202, s12, v104
	v_mul_f16_e32 v191, 0xb8b4, v105
	v_mul_f16_e32 v105, 0xba79, v105
	v_fma_f16 v191, v104, s3, v191
	v_fma_f16 v192, v104, s6, v105
	v_add_f16_e32 v104, v152, v191
	v_add_f16_e32 v193, v153, v192
	v_pk_add_f16 v105, v199, v220 neg_lo:[0,1] neg_hi:[0,1]
	v_pack_b32_f16 v104, v104, v193
	ds_write2_b64 v154, v[104:105], v[16:17] offset0:2 offset1:3
	v_sub_f16_e32 v16, v201, v211
	v_sub_f16_e32 v17, v152, v191
	;; [unrolled: 1-line block ×4, first 2 shown]
	v_pack_b32_f16 v17, v17, v105
	v_pack_b32_f16 v16, v16, v104
	ds_write_b64 v154, v[16:17] offset:32
	s_waitcnt lgkmcnt(0)
	s_barrier
	ds_read2_b32 v[16:17], v130 offset0:42 offset1:123
	ds_read2_b32 v[104:105], v145 offset0:84 offset1:165
	s_mov_b32 s2, 0x40e53dbc
	s_mov_b32 s3, 0x3f3af834
	s_movk_i32 s6, 0x1ff
	s_waitcnt lgkmcnt(1)
	v_lshrrev_b32_e32 v152, 16, v16
	v_mul_f16_sdwa v153, v2, v16 dst_sel:DWORD dst_unused:UNUSED_PAD src0_sel:WORD_1 src1_sel:DWORD
	v_fma_f16 v153, v2, v152, -v153
	v_mul_f16_sdwa v152, v2, v152 dst_sel:DWORD dst_unused:UNUSED_PAD src0_sel:WORD_1 src1_sel:DWORD
	v_fma_f16 v16, v2, v16, v152
	s_waitcnt lgkmcnt(0)
	v_lshrrev_b32_e32 v2, 16, v104
	v_mul_f16_sdwa v152, v3, v104 dst_sel:DWORD dst_unused:UNUSED_PAD src0_sel:WORD_1 src1_sel:DWORD
	v_fma_f16 v152, v3, v2, -v152
	v_mul_f16_sdwa v2, v3, v2 dst_sel:DWORD dst_unused:UNUSED_PAD src0_sel:WORD_1 src1_sel:DWORD
	v_fma_f16 v104, v3, v104, v2
	v_lshrrev_b32_e32 v2, 16, v17
	v_mul_f16_sdwa v3, v8, v2 dst_sel:DWORD dst_unused:UNUSED_PAD src0_sel:WORD_1 src1_sel:DWORD
	v_fma_f16 v154, v8, v17, v3
	v_mul_f16_sdwa v3, v8, v17 dst_sel:DWORD dst_unused:UNUSED_PAD src0_sel:WORD_1 src1_sel:DWORD
	v_fma_f16 v17, v8, v2, -v3
	v_lshrrev_b32_e32 v8, 16, v105
	ds_read2_b32 v[2:3], v148 offset0:76 offset1:157
	v_mul_f16_sdwa v191, v9, v8 dst_sel:DWORD dst_unused:UNUSED_PAD src0_sel:WORD_1 src1_sel:DWORD
	v_fma_f16 v191, v9, v105, v191
	v_mul_f16_sdwa v105, v9, v105 dst_sel:DWORD dst_unused:UNUSED_PAD src0_sel:WORD_1 src1_sel:DWORD
	v_fma_f16 v105, v9, v8, -v105
	ds_read2_b32 v[8:9], v126 offset0:118 offset1:199
	s_waitcnt lgkmcnt(1)
	v_lshrrev_b32_e32 v192, 16, v2
	v_mul_f16_sdwa v193, v6, v2 dst_sel:DWORD dst_unused:UNUSED_PAD src0_sel:WORD_1 src1_sel:DWORD
	v_fma_f16 v193, v6, v192, -v193
	v_mul_f16_sdwa v192, v6, v192 dst_sel:DWORD dst_unused:UNUSED_PAD src0_sel:WORD_1 src1_sel:DWORD
	v_fma_f16 v192, v6, v2, v192
	s_waitcnt lgkmcnt(0)
	v_lshrrev_b32_e32 v2, 16, v8
	v_mul_f16_sdwa v6, v7, v8 dst_sel:DWORD dst_unused:UNUSED_PAD src0_sel:WORD_1 src1_sel:DWORD
	v_fma_f16 v194, v7, v2, -v6
	v_mul_f16_sdwa v2, v7, v2 dst_sel:DWORD dst_unused:UNUSED_PAD src0_sel:WORD_1 src1_sel:DWORD
	v_fma_f16 v195, v7, v8, v2
	v_lshrrev_b32_e32 v2, 16, v3
	v_mul_f16_sdwa v6, v4, v2 dst_sel:DWORD dst_unused:UNUSED_PAD src0_sel:WORD_1 src1_sel:DWORD
	v_fma_f16 v196, v4, v3, v6
	v_mul_f16_sdwa v3, v4, v3 dst_sel:DWORD dst_unused:UNUSED_PAD src0_sel:WORD_1 src1_sel:DWORD
	v_fma_f16 v197, v4, v2, -v3
	v_lshrrev_b32_e32 v4, 16, v9
	ds_read2_b32 v[2:3], v147 offset0:110 offset1:191
	v_mul_f16_sdwa v6, v5, v4 dst_sel:DWORD dst_unused:UNUSED_PAD src0_sel:WORD_1 src1_sel:DWORD
	v_fma_f16 v198, v5, v9, v6
	v_mul_f16_sdwa v6, v5, v9 dst_sel:DWORD dst_unused:UNUSED_PAD src0_sel:WORD_1 src1_sel:DWORD
	v_fma_f16 v199, v5, v4, -v6
	ds_read2_b32 v[4:5], v143 offset0:152 offset1:233
	s_waitcnt lgkmcnt(1)
	v_lshrrev_b32_e32 v6, 16, v2
	v_mul_f16_sdwa v7, v30, v2 dst_sel:DWORD dst_unused:UNUSED_PAD src0_sel:WORD_1 src1_sel:DWORD
	v_fma_f16 v200, v30, v6, -v7
	v_mul_f16_sdwa v6, v30, v6 dst_sel:DWORD dst_unused:UNUSED_PAD src0_sel:WORD_1 src1_sel:DWORD
	v_fma_f16 v30, v30, v2, v6
	s_waitcnt lgkmcnt(0)
	v_lshrrev_b32_e32 v2, 16, v4
	v_mul_f16_sdwa v6, v31, v4 dst_sel:DWORD dst_unused:UNUSED_PAD src0_sel:WORD_1 src1_sel:DWORD
	v_fma_f16 v201, v31, v2, -v6
	v_mul_f16_sdwa v2, v31, v2 dst_sel:DWORD dst_unused:UNUSED_PAD src0_sel:WORD_1 src1_sel:DWORD
	v_fma_f16 v31, v31, v4, v2
	v_lshrrev_b32_e32 v2, 16, v3
	v_mul_f16_sdwa v4, v28, v2 dst_sel:DWORD dst_unused:UNUSED_PAD src0_sel:WORD_1 src1_sel:DWORD
	v_fma_f16 v202, v28, v3, v4
	v_mul_f16_sdwa v3, v28, v3 dst_sel:DWORD dst_unused:UNUSED_PAD src0_sel:WORD_1 src1_sel:DWORD
	v_lshrrev_b32_e32 v4, 16, v5
	v_fma_f16 v28, v28, v2, -v3
	ds_read2_b32 v[2:3], v129 offset0:16 offset1:97
	v_mul_f16_sdwa v6, v29, v4 dst_sel:DWORD dst_unused:UNUSED_PAD src0_sel:WORD_1 src1_sel:DWORD
	v_fma_f16 v203, v29, v5, v6
	v_mul_f16_sdwa v5, v29, v5 dst_sel:DWORD dst_unused:UNUSED_PAD src0_sel:WORD_1 src1_sel:DWORD
	v_fma_f16 v29, v29, v4, -v5
	ds_read2_b32 v[4:5], v140 offset0:58 offset1:139
	s_waitcnt lgkmcnt(1)
	v_lshrrev_b32_e32 v6, 16, v2
	v_mul_f16_sdwa v7, v22, v2 dst_sel:DWORD dst_unused:UNUSED_PAD src0_sel:WORD_1 src1_sel:DWORD
	v_fma_f16 v204, v22, v6, -v7
	v_mul_f16_sdwa v6, v22, v6 dst_sel:DWORD dst_unused:UNUSED_PAD src0_sel:WORD_1 src1_sel:DWORD
	v_fma_f16 v22, v22, v2, v6
	s_waitcnt lgkmcnt(0)
	v_lshrrev_b32_e32 v2, 16, v4
	v_mul_f16_sdwa v6, v23, v4 dst_sel:DWORD dst_unused:UNUSED_PAD src0_sel:WORD_1 src1_sel:DWORD
	v_fma_f16 v205, v23, v2, -v6
	v_mul_f16_sdwa v2, v23, v2 dst_sel:DWORD dst_unused:UNUSED_PAD src0_sel:WORD_1 src1_sel:DWORD
	v_fma_f16 v23, v23, v4, v2
	v_lshrrev_b32_e32 v2, 16, v3
	v_mul_f16_sdwa v4, v18, v2 dst_sel:DWORD dst_unused:UNUSED_PAD src0_sel:WORD_1 src1_sel:DWORD
	v_fma_f16 v206, v18, v3, v4
	v_mul_f16_sdwa v3, v18, v3 dst_sel:DWORD dst_unused:UNUSED_PAD src0_sel:WORD_1 src1_sel:DWORD
	v_lshrrev_b32_e32 v4, 16, v5
	v_fma_f16 v18, v18, v2, -v3
	ds_read2_b32 v[2:3], v146 offset0:50 offset1:131
	v_mul_f16_sdwa v6, v19, v4 dst_sel:DWORD dst_unused:UNUSED_PAD src0_sel:WORD_1 src1_sel:DWORD
	v_fma_f16 v207, v19, v5, v6
	v_mul_f16_sdwa v5, v19, v5 dst_sel:DWORD dst_unused:UNUSED_PAD src0_sel:WORD_1 src1_sel:DWORD
	v_fma_f16 v19, v19, v4, -v5
	ds_read2_b32 v[4:5], v121 offset0:92 offset1:173
	s_waitcnt lgkmcnt(1)
	v_lshrrev_b32_e32 v6, 16, v2
	v_mul_f16_sdwa v7, v12, v2 dst_sel:DWORD dst_unused:UNUSED_PAD src0_sel:WORD_1 src1_sel:DWORD
	v_fma_f16 v208, v12, v6, -v7
	v_mul_f16_sdwa v6, v12, v6 dst_sel:DWORD dst_unused:UNUSED_PAD src0_sel:WORD_1 src1_sel:DWORD
	v_fma_f16 v12, v12, v2, v6
	s_waitcnt lgkmcnt(0)
	v_lshrrev_b32_e32 v2, 16, v4
	v_mul_f16_sdwa v6, v13, v4 dst_sel:DWORD dst_unused:UNUSED_PAD src0_sel:WORD_1 src1_sel:DWORD
	v_fma_f16 v209, v13, v2, -v6
	v_mul_f16_sdwa v2, v13, v2 dst_sel:DWORD dst_unused:UNUSED_PAD src0_sel:WORD_1 src1_sel:DWORD
	v_fma_f16 v13, v13, v4, v2
	v_lshrrev_b32_e32 v2, 16, v3
	v_mul_f16_sdwa v4, v10, v2 dst_sel:DWORD dst_unused:UNUSED_PAD src0_sel:WORD_1 src1_sel:DWORD
	v_fma_f16 v210, v10, v3, v4
	v_mul_f16_sdwa v3, v10, v3 dst_sel:DWORD dst_unused:UNUSED_PAD src0_sel:WORD_1 src1_sel:DWORD
	v_fma_f16 v211, v10, v2, -v3
	ds_read2_b32 v[2:3], v0 offset1:81
	v_lshrrev_b32_e32 v4, 16, v5
	v_mul_f16_sdwa v6, v11, v4 dst_sel:DWORD dst_unused:UNUSED_PAD src0_sel:WORD_1 src1_sel:DWORD
	v_fma_f16 v212, v11, v5, v6
	v_mul_f16_sdwa v5, v11, v5 dst_sel:DWORD dst_unused:UNUSED_PAD src0_sel:WORD_1 src1_sel:DWORD
	v_fma_f16 v213, v11, v4, -v5
	s_waitcnt lgkmcnt(0)
	v_lshrrev_b32_e32 v4, 16, v2
	v_add_f16_e32 v5, v4, v153
	v_add_f16_e32 v6, v153, v152
	;; [unrolled: 1-line block ×3, first 2 shown]
	v_sub_f16_e32 v214, v153, v152
	v_fma_f16 v152, v6, -0.5, v4
	v_add_f16_e32 v4, v2, v16
	v_add_f16_e32 v6, v16, v104
	;; [unrolled: 1-line block ×3, first 2 shown]
	v_sub_f16_e32 v16, v16, v104
	v_fma_f16 v2, v6, -0.5, v2
	v_pack_b32_f16 v104, v4, v5
	v_fma_f16 v4, v214, s1, v2
	v_fma_f16 v5, v16, s0, v152
	;; [unrolled: 1-line block ×4, first 2 shown]
	v_pack_b32_f16 v2, v2, v16
	v_pack_b32_f16 v153, v4, v5
	ds_read2_b32 v[4:5], v0 offset0:162 offset1:243
	ds_read2_b32 v[6:7], v133 offset0:68 offset1:149
	;; [unrolled: 1-line block ×4, first 2 shown]
	s_waitcnt lgkmcnt(0)
	s_barrier
	ds_write_b32 v155, v2 offset:80
	v_add_f16_e32 v2, v154, v191
	v_lshrrev_b32_e32 v16, 16, v3
	ds_write2_b32 v155, v104, v153 offset1:10
	v_fma_f16 v2, v2, -0.5, v3
	v_add_f16_e32 v3, v3, v154
	v_add_f16_e32 v104, v16, v17
	v_sub_f16_e32 v152, v17, v105
	v_add_f16_e32 v17, v17, v105
	v_add_f16_e32 v104, v104, v105
	v_fma_f16 v16, v17, -0.5, v16
	v_add_f16_e32 v3, v3, v191
	v_sub_f16_e32 v17, v154, v191
	v_pack_b32_f16 v3, v3, v104
	v_fma_f16 v104, v152, s1, v2
	v_fma_f16 v105, v17, s0, v16
	v_pack_b32_f16 v104, v104, v105
	ds_write2_b32 v156, v3, v104 offset1:10
	v_fma_f16 v2, v152, s0, v2
	v_fma_f16 v3, v17, s1, v16
	v_pack_b32_f16 v2, v2, v3
	ds_write_b32 v156, v2 offset:80
	v_lshrrev_b32_e32 v2, 16, v4
	v_add_f16_e32 v17, v193, v194
	v_add_f16_e32 v3, v2, v193
	v_fma_f16 v2, v17, -0.5, v2
	v_add_f16_e32 v17, v4, v192
	v_add_f16_e32 v104, v192, v195
	;; [unrolled: 1-line block ×3, first 2 shown]
	v_sub_f16_e32 v16, v193, v194
	v_add_f16_e32 v17, v17, v195
	v_sub_f16_e32 v105, v192, v195
	v_fma_f16 v4, v104, -0.5, v4
	v_pack_b32_f16 v3, v17, v3
	v_fma_f16 v17, v16, s1, v4
	v_fma_f16 v104, v105, s0, v2
	v_pack_b32_f16 v17, v17, v104
	ds_write2_b32 v157, v3, v17 offset1:10
	v_fma_f16 v3, v16, s0, v4
	v_fma_f16 v2, v105, s1, v2
	v_pack_b32_f16 v2, v3, v2
	ds_write_b32 v157, v2 offset:80
	v_add_f16_e32 v2, v196, v198
	v_lshrrev_b32_e32 v3, 16, v5
	v_fma_f16 v2, v2, -0.5, v5
	v_add_f16_e32 v4, v5, v196
	v_add_f16_e32 v5, v3, v197
	;; [unrolled: 1-line block ×4, first 2 shown]
	v_sub_f16_e32 v16, v197, v199
	v_fma_f16 v3, v17, -0.5, v3
	v_add_f16_e32 v4, v4, v198
	v_sub_f16_e32 v17, v196, v198
	v_pack_b32_f16 v4, v4, v5
	v_fma_f16 v5, v16, s1, v2
	v_fma_f16 v104, v17, s0, v3
	;; [unrolled: 1-line block ×4, first 2 shown]
	v_pack_b32_f16 v5, v5, v104
	v_pack_b32_f16 v2, v2, v3
	ds_write2_b32 v158, v4, v5 offset1:10
	ds_write_b32 v158, v2 offset:80
	v_lshrrev_b32_e32 v2, 16, v6
	v_add_f16_e32 v5, v200, v201
	v_add_f16_e32 v3, v2, v200
	v_fma_f16 v2, v5, -0.5, v2
	v_add_f16_e32 v5, v6, v30
	v_add_f16_e32 v3, v3, v201
	;; [unrolled: 1-line block ×4, first 2 shown]
	v_sub_f16_e32 v4, v200, v201
	v_sub_f16_e32 v17, v30, v31
	v_pack_b32_f16 v3, v5, v3
	v_fma_f16 v5, v16, -0.5, v6
	v_fma_f16 v6, v4, s1, v5
	v_fma_f16 v16, v17, s0, v2
	v_pack_b32_f16 v6, v6, v16
	ds_write2_b32 v159, v3, v6 offset1:10
	v_fma_f16 v3, v4, s0, v5
	v_fma_f16 v2, v17, s1, v2
	v_pack_b32_f16 v2, v3, v2
	ds_write_b32 v159, v2 offset:80
	v_add_f16_e32 v2, v202, v203
	v_lshrrev_b32_e32 v3, 16, v7
	v_fma_f16 v2, v2, -0.5, v7
	v_add_f16_e32 v4, v7, v202
	v_add_f16_e32 v5, v3, v28
	;; [unrolled: 1-line block ×4, first 2 shown]
	v_sub_f16_e32 v6, v28, v29
	v_fma_f16 v3, v7, -0.5, v3
	v_add_f16_e32 v4, v4, v203
	v_sub_f16_e32 v7, v202, v203
	v_pack_b32_f16 v4, v4, v5
	v_fma_f16 v5, v6, s1, v2
	v_fma_f16 v16, v7, s0, v3
	v_fma_f16 v2, v6, s0, v2
	v_fma_f16 v3, v7, s1, v3
	v_pack_b32_f16 v5, v5, v16
	v_pack_b32_f16 v2, v2, v3
	ds_write2_b32 v160, v4, v5 offset1:10
	ds_write_b32 v160, v2 offset:80
	v_lshrrev_b32_e32 v2, 16, v8
	v_add_f16_e32 v5, v204, v205
	v_add_f16_e32 v3, v2, v204
	v_fma_f16 v2, v5, -0.5, v2
	v_add_f16_e32 v5, v8, v22
	v_add_f16_e32 v3, v3, v205
	;; [unrolled: 1-line block ×4, first 2 shown]
	v_sub_f16_e32 v4, v204, v205
	v_sub_f16_e32 v7, v22, v23
	v_pack_b32_f16 v3, v5, v3
	v_fma_f16 v5, v6, -0.5, v8
	v_fma_f16 v6, v4, s1, v5
	v_fma_f16 v8, v7, s0, v2
	v_pack_b32_f16 v6, v6, v8
	ds_write2_b32 v161, v3, v6 offset1:10
	v_fma_f16 v3, v4, s0, v5
	v_fma_f16 v2, v7, s1, v2
	v_pack_b32_f16 v2, v3, v2
	v_lshrrev_b32_e32 v3, 16, v9
	ds_write_b32 v161, v2 offset:80
	v_add_f16_e32 v2, v206, v207
	v_add_f16_e32 v4, v9, v206
	v_add_f16_e32 v5, v3, v18
	v_add_f16_e32 v7, v18, v19
	v_fma_f16 v2, v2, -0.5, v9
	v_add_f16_e32 v5, v5, v19
	v_sub_f16_e32 v6, v18, v19
	v_fma_f16 v3, v7, -0.5, v3
	v_add_f16_e32 v4, v4, v207
	v_sub_f16_e32 v7, v206, v207
	v_pack_b32_f16 v4, v4, v5
	v_fma_f16 v5, v6, s1, v2
	v_fma_f16 v8, v7, s0, v3
	;; [unrolled: 1-line block ×4, first 2 shown]
	v_pack_b32_f16 v5, v5, v8
	v_pack_b32_f16 v2, v2, v3
	ds_write2_b32 v162, v4, v5 offset1:10
	ds_write_b32 v162, v2 offset:80
	v_lshrrev_b32_e32 v2, 16, v10
	v_add_f16_e32 v5, v208, v209
	v_add_f16_e32 v3, v2, v208
	v_fma_f16 v2, v5, -0.5, v2
	v_add_f16_e32 v5, v10, v12
	v_add_f16_e32 v3, v3, v209
	;; [unrolled: 1-line block ×4, first 2 shown]
	v_sub_f16_e32 v4, v208, v209
	v_sub_f16_e32 v7, v12, v13
	v_pack_b32_f16 v3, v5, v3
	v_fma_f16 v5, v6, -0.5, v10
	v_fma_f16 v6, v4, s1, v5
	v_fma_f16 v8, v7, s0, v2
	v_pack_b32_f16 v6, v6, v8
	ds_write2_b32 v163, v3, v6 offset1:10
	v_fma_f16 v3, v4, s0, v5
	v_fma_f16 v2, v7, s1, v2
	v_pack_b32_f16 v2, v3, v2
	v_lshrrev_b32_e32 v3, 16, v11
	ds_write_b32 v163, v2 offset:80
	v_add_f16_e32 v2, v210, v212
	v_add_f16_e32 v4, v11, v210
	;; [unrolled: 1-line block ×4, first 2 shown]
	v_fma_f16 v2, v2, -0.5, v11
	v_add_f16_e32 v5, v5, v213
	v_sub_f16_e32 v6, v211, v213
	v_fma_f16 v3, v7, -0.5, v3
	v_add_f16_e32 v4, v4, v212
	v_sub_f16_e32 v7, v210, v212
	v_pack_b32_f16 v4, v4, v5
	v_fma_f16 v5, v6, s1, v2
	v_fma_f16 v8, v7, s0, v3
	;; [unrolled: 1-line block ×4, first 2 shown]
	v_pack_b32_f16 v5, v5, v8
	v_pack_b32_f16 v2, v2, v3
	ds_write2_b32 v164, v4, v5 offset1:10
	ds_write_b32 v164, v2 offset:80
	s_waitcnt lgkmcnt(0)
	s_barrier
	ds_read2_b32 v[2:3], v130 offset0:42 offset1:123
	ds_read2_b32 v[4:5], v145 offset0:84 offset1:165
	s_movk_i32 s7, 0xffe
	s_waitcnt lgkmcnt(1)
	v_lshrrev_b32_e32 v6, 16, v2
	v_mul_f16_sdwa v7, v20, v2 dst_sel:DWORD dst_unused:UNUSED_PAD src0_sel:WORD_1 src1_sel:DWORD
	v_fma_f16 v7, v20, v6, -v7
	v_mul_f16_sdwa v6, v20, v6 dst_sel:DWORD dst_unused:UNUSED_PAD src0_sel:WORD_1 src1_sel:DWORD
	v_fma_f16 v6, v20, v2, v6
	s_waitcnt lgkmcnt(0)
	v_lshrrev_b32_e32 v2, 16, v4
	v_mul_f16_sdwa v8, v21, v4 dst_sel:DWORD dst_unused:UNUSED_PAD src0_sel:WORD_1 src1_sel:DWORD
	v_fma_f16 v8, v21, v2, -v8
	v_mul_f16_sdwa v2, v21, v2 dst_sel:DWORD dst_unused:UNUSED_PAD src0_sel:WORD_1 src1_sel:DWORD
	v_fma_f16 v9, v21, v4, v2
	v_lshrrev_b32_e32 v2, 16, v3
	v_mul_f16_sdwa v4, v26, v2 dst_sel:DWORD dst_unused:UNUSED_PAD src0_sel:WORD_1 src1_sel:DWORD
	v_fma_f16 v12, v26, v3, v4
	v_mul_f16_sdwa v3, v26, v3 dst_sel:DWORD dst_unused:UNUSED_PAD src0_sel:WORD_1 src1_sel:DWORD
	v_lshrrev_b32_e32 v4, 16, v5
	v_fma_f16 v13, v26, v2, -v3
	ds_read2_b32 v[2:3], v148 offset0:76 offset1:157
	v_mul_f16_sdwa v10, v27, v4 dst_sel:DWORD dst_unused:UNUSED_PAD src0_sel:WORD_1 src1_sel:DWORD
	v_fma_f16 v16, v27, v5, v10
	v_mul_f16_sdwa v5, v27, v5 dst_sel:DWORD dst_unused:UNUSED_PAD src0_sel:WORD_1 src1_sel:DWORD
	v_fma_f16 v17, v27, v4, -v5
	ds_read2_b32 v[4:5], v126 offset0:118 offset1:199
	s_waitcnt lgkmcnt(1)
	v_lshrrev_b32_e32 v10, 16, v2
	v_mul_f16_sdwa v11, v24, v2 dst_sel:DWORD dst_unused:UNUSED_PAD src0_sel:WORD_1 src1_sel:DWORD
	v_fma_f16 v18, v24, v10, -v11
	v_mul_f16_sdwa v10, v24, v10 dst_sel:DWORD dst_unused:UNUSED_PAD src0_sel:WORD_1 src1_sel:DWORD
	v_fma_f16 v19, v24, v2, v10
	s_waitcnt lgkmcnt(0)
	v_lshrrev_b32_e32 v2, 16, v4
	v_mul_f16_sdwa v10, v25, v4 dst_sel:DWORD dst_unused:UNUSED_PAD src0_sel:WORD_1 src1_sel:DWORD
	v_fma_f16 v20, v25, v2, -v10
	v_mul_f16_sdwa v2, v25, v2 dst_sel:DWORD dst_unused:UNUSED_PAD src0_sel:WORD_1 src1_sel:DWORD
	v_fma_f16 v21, v25, v4, v2
	v_lshrrev_b32_e32 v2, 16, v3
	v_mul_f16_sdwa v4, v14, v2 dst_sel:DWORD dst_unused:UNUSED_PAD src0_sel:WORD_1 src1_sel:DWORD
	v_fma_f16 v22, v14, v3, v4
	v_mul_f16_sdwa v3, v14, v3 dst_sel:DWORD dst_unused:UNUSED_PAD src0_sel:WORD_1 src1_sel:DWORD
	v_lshrrev_b32_e32 v4, 16, v5
	v_fma_f16 v14, v14, v2, -v3
	ds_read2_b32 v[2:3], v147 offset0:110 offset1:191
	v_mul_f16_sdwa v10, v15, v4 dst_sel:DWORD dst_unused:UNUSED_PAD src0_sel:WORD_1 src1_sel:DWORD
	v_fma_f16 v23, v15, v5, v10
	v_mul_f16_sdwa v5, v15, v5 dst_sel:DWORD dst_unused:UNUSED_PAD src0_sel:WORD_1 src1_sel:DWORD
	v_fma_f16 v15, v15, v4, -v5
	ds_read2_b32 v[4:5], v143 offset0:152 offset1:233
	;; [unrolled: 24-line block ×4, first 2 shown]
	s_waitcnt lgkmcnt(1)
	v_lshrrev_b32_e32 v10, 16, v2
	v_mul_f16_sdwa v11, v36, v2 dst_sel:DWORD dst_unused:UNUSED_PAD src0_sel:WORD_1 src1_sel:DWORD
	v_fma_f16 v104, v36, v10, -v11
	v_mul_f16_sdwa v10, v36, v10 dst_sel:DWORD dst_unused:UNUSED_PAD src0_sel:WORD_1 src1_sel:DWORD
	v_fma_f16 v36, v36, v2, v10
	s_waitcnt lgkmcnt(0)
	v_lshrrev_b32_e32 v2, 16, v4
	v_mul_f16_sdwa v10, v37, v4 dst_sel:DWORD dst_unused:UNUSED_PAD src0_sel:WORD_1 src1_sel:DWORD
	v_fma_f16 v105, v37, v2, -v10
	v_mul_f16_sdwa v2, v37, v2 dst_sel:DWORD dst_unused:UNUSED_PAD src0_sel:WORD_1 src1_sel:DWORD
	v_fma_f16 v37, v37, v4, v2
	v_lshrrev_b32_e32 v2, 16, v3
	v_mul_f16_sdwa v4, v34, v2 dst_sel:DWORD dst_unused:UNUSED_PAD src0_sel:WORD_1 src1_sel:DWORD
	v_fma_f16 v152, v34, v3, v4
	v_mul_f16_sdwa v3, v34, v3 dst_sel:DWORD dst_unused:UNUSED_PAD src0_sel:WORD_1 src1_sel:DWORD
	v_fma_f16 v34, v34, v2, -v3
	ds_read2_b32 v[2:3], v0 offset1:81
	v_lshrrev_b32_e32 v4, 16, v5
	v_mul_f16_sdwa v10, v35, v4 dst_sel:DWORD dst_unused:UNUSED_PAD src0_sel:WORD_1 src1_sel:DWORD
	v_fma_f16 v153, v35, v5, v10
	v_mul_f16_sdwa v5, v35, v5 dst_sel:DWORD dst_unused:UNUSED_PAD src0_sel:WORD_1 src1_sel:DWORD
	v_fma_f16 v35, v35, v4, -v5
	s_waitcnt lgkmcnt(0)
	v_lshrrev_b32_e32 v4, 16, v2
	v_add_f16_e32 v5, v4, v7
	v_sub_f16_e32 v154, v7, v8
	v_add_f16_e32 v7, v7, v8
	v_fma_f16 v155, v7, -0.5, v4
	v_add_f16_e32 v4, v2, v6
	v_add_f16_e32 v7, v6, v9
	;; [unrolled: 1-line block ×4, first 2 shown]
	v_sub_f16_e32 v156, v6, v9
	v_fma_f16 v2, v7, -0.5, v2
	v_pack_b32_f16 v157, v4, v5
	v_fma_f16 v4, v154, s1, v2
	v_fma_f16 v2, v154, s0, v2
	;; [unrolled: 1-line block ×4, first 2 shown]
	v_pack_b32_f16 v2, v2, v154
	v_lshrrev_b32_e32 v154, 16, v3
	v_pack_b32_f16 v158, v4, v5
	ds_read2_b32 v[4:5], v0 offset0:162 offset1:243
	ds_read2_b32 v[6:7], v133 offset0:68 offset1:149
	;; [unrolled: 1-line block ×4, first 2 shown]
	s_waitcnt lgkmcnt(0)
	s_barrier
	ds_write_b32 v165, v2 offset:240
	v_add_f16_e32 v2, v12, v16
	v_add_f16_e32 v155, v154, v13
	v_sub_f16_e32 v156, v13, v17
	v_add_f16_e32 v13, v13, v17
	v_fma_f16 v2, v2, -0.5, v3
	v_add_f16_e32 v3, v3, v12
	v_fma_f16 v13, v13, -0.5, v154
	v_sub_f16_e32 v12, v12, v16
	v_add_f16_e32 v155, v155, v17
	v_add_f16_e32 v3, v3, v16
	v_fma_f16 v16, v156, s1, v2
	v_fma_f16 v17, v12, s0, v13
	v_pack_b32_f16 v3, v3, v155
	v_pack_b32_f16 v16, v16, v17
	ds_write2_b32 v165, v157, v158 offset1:30
	ds_write2_b32 v166, v3, v16 offset1:30
	v_fma_f16 v2, v156, s0, v2
	v_fma_f16 v3, v12, s1, v13
	v_pack_b32_f16 v2, v2, v3
	ds_write_b32 v166, v2 offset:240
	v_lshrrev_b32_e32 v2, 16, v4
	v_add_f16_e32 v13, v18, v20
	v_add_f16_e32 v3, v2, v18
	v_fma_f16 v2, v13, -0.5, v2
	v_add_f16_e32 v13, v4, v19
	v_add_f16_e32 v16, v19, v21
	;; [unrolled: 1-line block ×3, first 2 shown]
	v_sub_f16_e32 v12, v18, v20
	v_add_f16_e32 v13, v13, v21
	v_sub_f16_e32 v17, v19, v21
	v_fma_f16 v4, v16, -0.5, v4
	v_pack_b32_f16 v3, v13, v3
	v_fma_f16 v13, v12, s1, v4
	v_fma_f16 v16, v17, s0, v2
	v_pack_b32_f16 v13, v13, v16
	ds_write2_b32 v167, v3, v13 offset1:30
	v_fma_f16 v3, v12, s0, v4
	v_fma_f16 v2, v17, s1, v2
	v_pack_b32_f16 v2, v3, v2
	ds_write_b32 v167, v2 offset:240
	v_add_f16_e32 v2, v22, v23
	v_lshrrev_b32_e32 v3, 16, v5
	v_fma_f16 v2, v2, -0.5, v5
	v_add_f16_e32 v4, v5, v22
	v_add_f16_e32 v5, v3, v14
	;; [unrolled: 1-line block ×4, first 2 shown]
	v_sub_f16_e32 v12, v14, v15
	v_fma_f16 v3, v13, -0.5, v3
	v_add_f16_e32 v4, v4, v23
	v_sub_f16_e32 v13, v22, v23
	v_pack_b32_f16 v4, v4, v5
	v_fma_f16 v5, v12, s1, v2
	v_fma_f16 v14, v13, s0, v3
	;; [unrolled: 1-line block ×4, first 2 shown]
	v_pack_b32_f16 v5, v5, v14
	v_pack_b32_f16 v2, v2, v3
	ds_write2_b32 v168, v4, v5 offset1:30
	ds_write_b32 v168, v2 offset:240
	v_lshrrev_b32_e32 v2, 16, v6
	v_add_f16_e32 v5, v24, v26
	v_add_f16_e32 v3, v2, v24
	v_fma_f16 v2, v5, -0.5, v2
	v_add_f16_e32 v5, v6, v25
	v_add_f16_e32 v3, v3, v26
	;; [unrolled: 1-line block ×4, first 2 shown]
	v_sub_f16_e32 v4, v24, v26
	v_sub_f16_e32 v13, v25, v27
	v_pack_b32_f16 v3, v5, v3
	v_fma_f16 v5, v12, -0.5, v6
	v_fma_f16 v6, v4, s1, v5
	v_fma_f16 v12, v13, s0, v2
	v_pack_b32_f16 v6, v6, v12
	ds_write2_b32 v169, v3, v6 offset1:30
	v_fma_f16 v3, v4, s0, v5
	v_fma_f16 v2, v13, s1, v2
	v_pack_b32_f16 v2, v3, v2
	ds_write_b32 v169, v2 offset:240
	v_add_f16_e32 v2, v28, v30
	v_lshrrev_b32_e32 v3, 16, v7
	v_fma_f16 v2, v2, -0.5, v7
	v_add_f16_e32 v4, v7, v28
	v_add_f16_e32 v5, v3, v29
	;; [unrolled: 1-line block ×4, first 2 shown]
	v_sub_f16_e32 v6, v29, v31
	v_fma_f16 v3, v7, -0.5, v3
	v_add_f16_e32 v4, v4, v30
	v_sub_f16_e32 v7, v28, v30
	v_pack_b32_f16 v4, v4, v5
	v_fma_f16 v5, v6, s1, v2
	v_fma_f16 v12, v7, s0, v3
	v_fma_f16 v2, v6, s0, v2
	v_fma_f16 v3, v7, s1, v3
	v_pack_b32_f16 v5, v5, v12
	v_pack_b32_f16 v2, v2, v3
	ds_write2_b32 v170, v4, v5 offset1:30
	ds_write_b32 v170, v2 offset:240
	v_lshrrev_b32_e32 v2, 16, v8
	v_add_f16_e32 v5, v46, v47
	v_add_f16_e32 v3, v2, v46
	v_fma_f16 v2, v5, -0.5, v2
	v_add_f16_e32 v5, v8, v42
	v_add_f16_e32 v3, v3, v47
	;; [unrolled: 1-line block ×4, first 2 shown]
	v_sub_f16_e32 v4, v46, v47
	v_sub_f16_e32 v7, v42, v43
	v_pack_b32_f16 v3, v5, v3
	v_fma_f16 v5, v6, -0.5, v8
	v_fma_f16 v6, v4, s1, v5
	v_fma_f16 v8, v7, s0, v2
	v_pack_b32_f16 v6, v6, v8
	ds_write2_b32 v171, v3, v6 offset1:30
	v_fma_f16 v3, v4, s0, v5
	v_fma_f16 v2, v7, s1, v2
	v_pack_b32_f16 v2, v3, v2
	v_lshrrev_b32_e32 v3, 16, v9
	ds_write_b32 v171, v2 offset:240
	v_add_f16_e32 v2, v50, v51
	v_add_f16_e32 v4, v9, v50
	;; [unrolled: 1-line block ×4, first 2 shown]
	v_fma_f16 v2, v2, -0.5, v9
	v_add_f16_e32 v5, v5, v39
	v_sub_f16_e32 v6, v38, v39
	v_fma_f16 v3, v7, -0.5, v3
	v_add_f16_e32 v4, v4, v51
	v_sub_f16_e32 v7, v50, v51
	v_pack_b32_f16 v4, v4, v5
	v_fma_f16 v5, v6, s1, v2
	v_fma_f16 v8, v7, s0, v3
	;; [unrolled: 1-line block ×4, first 2 shown]
	v_pack_b32_f16 v5, v5, v8
	v_pack_b32_f16 v2, v2, v3
	ds_write2_b32 v172, v4, v5 offset1:30
	ds_write_b32 v172, v2 offset:240
	v_lshrrev_b32_e32 v2, 16, v10
	v_add_f16_e32 v5, v104, v105
	v_add_f16_e32 v3, v2, v104
	v_fma_f16 v2, v5, -0.5, v2
	v_add_f16_e32 v5, v10, v36
	v_add_f16_e32 v3, v3, v105
	;; [unrolled: 1-line block ×4, first 2 shown]
	v_sub_f16_e32 v4, v104, v105
	v_sub_f16_e32 v7, v36, v37
	v_pack_b32_f16 v3, v5, v3
	v_fma_f16 v5, v6, -0.5, v10
	v_fma_f16 v6, v4, s1, v5
	v_fma_f16 v8, v7, s0, v2
	v_pack_b32_f16 v6, v6, v8
	ds_write2_b32 v173, v3, v6 offset1:30
	v_fma_f16 v3, v4, s0, v5
	v_fma_f16 v2, v7, s1, v2
	v_pack_b32_f16 v2, v3, v2
	v_lshrrev_b32_e32 v3, 16, v11
	ds_write_b32 v173, v2 offset:240
	v_add_f16_e32 v2, v152, v153
	v_add_f16_e32 v4, v11, v152
	;; [unrolled: 1-line block ×4, first 2 shown]
	v_fma_f16 v2, v2, -0.5, v11
	v_add_f16_e32 v5, v5, v35
	v_sub_f16_e32 v6, v34, v35
	v_fma_f16 v3, v7, -0.5, v3
	v_add_f16_e32 v4, v4, v153
	v_sub_f16_e32 v7, v152, v153
	v_pack_b32_f16 v4, v4, v5
	v_fma_f16 v5, v6, s1, v2
	v_fma_f16 v8, v7, s0, v3
	;; [unrolled: 1-line block ×4, first 2 shown]
	v_pack_b32_f16 v5, v5, v8
	v_pack_b32_f16 v2, v2, v3
	ds_write2_b32 v174, v4, v5 offset1:30
	ds_write_b32 v174, v2 offset:240
	s_waitcnt lgkmcnt(0)
	s_barrier
	ds_read2_b32 v[2:3], v130 offset0:42 offset1:123
	ds_read2_b32 v[4:5], v145 offset0:84 offset1:165
	s_waitcnt lgkmcnt(1)
	v_lshrrev_b32_e32 v6, 16, v2
	v_mul_f16_sdwa v7, v48, v2 dst_sel:DWORD dst_unused:UNUSED_PAD src0_sel:WORD_1 src1_sel:DWORD
	v_fma_f16 v7, v48, v6, -v7
	v_mul_f16_sdwa v6, v48, v6 dst_sel:DWORD dst_unused:UNUSED_PAD src0_sel:WORD_1 src1_sel:DWORD
	v_fma_f16 v6, v48, v2, v6
	s_waitcnt lgkmcnt(0)
	v_lshrrev_b32_e32 v2, 16, v4
	v_mul_f16_sdwa v8, v49, v4 dst_sel:DWORD dst_unused:UNUSED_PAD src0_sel:WORD_1 src1_sel:DWORD
	v_fma_f16 v8, v49, v2, -v8
	v_mul_f16_sdwa v2, v49, v2 dst_sel:DWORD dst_unused:UNUSED_PAD src0_sel:WORD_1 src1_sel:DWORD
	v_fma_f16 v9, v49, v4, v2
	v_lshrrev_b32_e32 v2, 16, v3
	v_mul_f16_sdwa v4, v44, v2 dst_sel:DWORD dst_unused:UNUSED_PAD src0_sel:WORD_1 src1_sel:DWORD
	v_fma_f16 v12, v44, v3, v4
	v_mul_f16_sdwa v3, v44, v3 dst_sel:DWORD dst_unused:UNUSED_PAD src0_sel:WORD_1 src1_sel:DWORD
	v_lshrrev_b32_e32 v4, 16, v5
	v_fma_f16 v13, v44, v2, -v3
	ds_read2_b32 v[2:3], v148 offset0:76 offset1:157
	v_mul_f16_sdwa v10, v45, v4 dst_sel:DWORD dst_unused:UNUSED_PAD src0_sel:WORD_1 src1_sel:DWORD
	v_fma_f16 v14, v45, v5, v10
	v_mul_f16_sdwa v5, v45, v5 dst_sel:DWORD dst_unused:UNUSED_PAD src0_sel:WORD_1 src1_sel:DWORD
	v_fma_f16 v15, v45, v4, -v5
	ds_read2_b32 v[4:5], v126 offset0:118 offset1:199
	s_waitcnt lgkmcnt(1)
	v_lshrrev_b32_e32 v10, 16, v2
	v_mul_f16_sdwa v11, v32, v2 dst_sel:DWORD dst_unused:UNUSED_PAD src0_sel:WORD_1 src1_sel:DWORD
	v_fma_f16 v16, v32, v10, -v11
	v_mul_f16_sdwa v10, v32, v10 dst_sel:DWORD dst_unused:UNUSED_PAD src0_sel:WORD_1 src1_sel:DWORD
	v_fma_f16 v17, v32, v2, v10
	s_waitcnt lgkmcnt(0)
	v_lshrrev_b32_e32 v2, 16, v4
	v_mul_f16_sdwa v10, v33, v4 dst_sel:DWORD dst_unused:UNUSED_PAD src0_sel:WORD_1 src1_sel:DWORD
	v_fma_f16 v18, v33, v2, -v10
	v_mul_f16_sdwa v2, v33, v2 dst_sel:DWORD dst_unused:UNUSED_PAD src0_sel:WORD_1 src1_sel:DWORD
	v_fma_f16 v19, v33, v4, v2
	v_lshrrev_b32_e32 v2, 16, v3
	v_mul_f16_sdwa v4, v40, v2 dst_sel:DWORD dst_unused:UNUSED_PAD src0_sel:WORD_1 src1_sel:DWORD
	v_fma_f16 v20, v40, v3, v4
	v_mul_f16_sdwa v3, v40, v3 dst_sel:DWORD dst_unused:UNUSED_PAD src0_sel:WORD_1 src1_sel:DWORD
	v_lshrrev_b32_e32 v4, 16, v5
	v_fma_f16 v21, v40, v2, -v3
	ds_read2_b32 v[2:3], v147 offset0:110 offset1:191
	v_mul_f16_sdwa v10, v41, v4 dst_sel:DWORD dst_unused:UNUSED_PAD src0_sel:WORD_1 src1_sel:DWORD
	v_fma_f16 v22, v41, v5, v10
	v_mul_f16_sdwa v5, v41, v5 dst_sel:DWORD dst_unused:UNUSED_PAD src0_sel:WORD_1 src1_sel:DWORD
	v_fma_f16 v23, v41, v4, -v5
	;; [unrolled: 24-line block ×4, first 2 shown]
	ds_read2_b32 v[4:5], v121 offset0:92 offset1:173
	s_waitcnt lgkmcnt(1)
	v_lshrrev_b32_e32 v10, 16, v2
	v_mul_f16_sdwa v11, v60, v2 dst_sel:DWORD dst_unused:UNUSED_PAD src0_sel:WORD_1 src1_sel:DWORD
	v_fma_f16 v40, v60, v10, -v11
	v_mul_f16_sdwa v10, v60, v10 dst_sel:DWORD dst_unused:UNUSED_PAD src0_sel:WORD_1 src1_sel:DWORD
	v_fma_f16 v41, v60, v2, v10
	s_waitcnt lgkmcnt(0)
	v_lshrrev_b32_e32 v2, 16, v4
	v_mul_f16_sdwa v10, v61, v4 dst_sel:DWORD dst_unused:UNUSED_PAD src0_sel:WORD_1 src1_sel:DWORD
	v_fma_f16 v42, v61, v2, -v10
	v_mul_f16_sdwa v2, v61, v2 dst_sel:DWORD dst_unused:UNUSED_PAD src0_sel:WORD_1 src1_sel:DWORD
	v_fma_f16 v43, v61, v4, v2
	v_lshrrev_b32_e32 v2, 16, v3
	v_mul_f16_sdwa v4, v56, v2 dst_sel:DWORD dst_unused:UNUSED_PAD src0_sel:WORD_1 src1_sel:DWORD
	v_fma_f16 v44, v56, v3, v4
	v_mul_f16_sdwa v3, v56, v3 dst_sel:DWORD dst_unused:UNUSED_PAD src0_sel:WORD_1 src1_sel:DWORD
	v_fma_f16 v45, v56, v2, -v3
	ds_read2_b32 v[2:3], v0 offset1:81
	v_lshrrev_b32_e32 v4, 16, v5
	v_mul_f16_sdwa v10, v57, v4 dst_sel:DWORD dst_unused:UNUSED_PAD src0_sel:WORD_1 src1_sel:DWORD
	v_fma_f16 v46, v57, v5, v10
	v_mul_f16_sdwa v5, v57, v5 dst_sel:DWORD dst_unused:UNUSED_PAD src0_sel:WORD_1 src1_sel:DWORD
	v_fma_f16 v47, v57, v4, -v5
	s_waitcnt lgkmcnt(0)
	v_lshrrev_b32_e32 v4, 16, v2
	v_add_f16_e32 v5, v4, v7
	v_sub_f16_e32 v48, v7, v8
	v_add_f16_e32 v7, v7, v8
	v_fma_f16 v49, v7, -0.5, v4
	v_add_f16_e32 v4, v2, v6
	v_add_f16_e32 v7, v6, v9
	;; [unrolled: 1-line block ×4, first 2 shown]
	v_sub_f16_e32 v50, v6, v9
	v_fma_f16 v2, v7, -0.5, v2
	v_pack_b32_f16 v51, v4, v5
	v_fma_f16 v4, v48, s1, v2
	v_fma_f16 v5, v50, s0, v49
	v_pack_b32_f16 v56, v4, v5
	v_fma_f16 v2, v48, s0, v2
	v_fma_f16 v48, v50, s1, v49
	v_add_f16_e32 v49, v12, v14
	v_lshrrev_b32_e32 v50, 16, v3
	ds_read2_b32 v[4:5], v0 offset0:162 offset1:243
	ds_read2_b32 v[6:7], v133 offset0:68 offset1:149
	;; [unrolled: 1-line block ×4, first 2 shown]
	s_waitcnt lgkmcnt(0)
	s_barrier
	ds_write2_b32 v0, v51, v56 offset1:90
	v_fma_f16 v49, v49, -0.5, v3
	v_add_f16_e32 v3, v3, v12
	v_add_f16_e32 v51, v50, v13
	v_sub_f16_e32 v56, v13, v15
	v_add_f16_e32 v13, v13, v15
	v_add_f16_e32 v51, v51, v15
	v_fma_f16 v13, v13, -0.5, v50
	v_add_f16_e32 v3, v3, v14
	v_sub_f16_e32 v12, v12, v14
	v_pack_b32_f16 v2, v2, v48
	ds_write_b32 v0, v2 offset:720
	v_pack_b32_f16 v2, v3, v51
	v_fma_f16 v3, v56, s1, v49
	v_fma_f16 v14, v12, s0, v13
	v_pack_b32_f16 v3, v3, v14
	ds_write2_b32 v175, v2, v3 offset1:90
	v_fma_f16 v2, v56, s0, v49
	v_fma_f16 v3, v12, s1, v13
	v_pack_b32_f16 v2, v2, v3
	ds_write_b32 v175, v2 offset:720
	v_lshrrev_b32_e32 v2, 16, v4
	v_add_f16_e32 v13, v16, v18
	v_add_f16_e32 v3, v2, v16
	v_fma_f16 v2, v13, -0.5, v2
	v_add_f16_e32 v13, v4, v17
	v_add_f16_e32 v14, v17, v19
	;; [unrolled: 1-line block ×3, first 2 shown]
	v_sub_f16_e32 v12, v16, v18
	v_add_f16_e32 v13, v13, v19
	v_sub_f16_e32 v15, v17, v19
	v_fma_f16 v4, v14, -0.5, v4
	v_pack_b32_f16 v3, v13, v3
	v_fma_f16 v13, v12, s1, v4
	v_fma_f16 v14, v15, s0, v2
	v_pack_b32_f16 v13, v13, v14
	ds_write2_b32 v176, v3, v13 offset1:90
	v_fma_f16 v3, v12, s0, v4
	v_fma_f16 v2, v15, s1, v2
	v_pack_b32_f16 v2, v3, v2
	ds_write_b32 v176, v2 offset:720
	v_add_f16_e32 v2, v20, v22
	v_lshrrev_b32_e32 v3, 16, v5
	v_fma_f16 v2, v2, -0.5, v5
	v_add_f16_e32 v4, v5, v20
	v_add_f16_e32 v5, v3, v21
	v_add_f16_e32 v13, v21, v23
	v_add_f16_e32 v5, v5, v23
	v_sub_f16_e32 v12, v21, v23
	v_fma_f16 v3, v13, -0.5, v3
	v_add_f16_e32 v4, v4, v22
	v_sub_f16_e32 v13, v20, v22
	v_pack_b32_f16 v4, v4, v5
	v_fma_f16 v5, v12, s1, v2
	v_fma_f16 v14, v13, s0, v3
	;; [unrolled: 1-line block ×4, first 2 shown]
	v_pack_b32_f16 v5, v5, v14
	v_pack_b32_f16 v2, v2, v3
	ds_write2_b32 v177, v4, v5 offset1:90
	ds_write_b32 v177, v2 offset:720
	v_lshrrev_b32_e32 v2, 16, v6
	v_add_f16_e32 v5, v24, v26
	v_add_f16_e32 v3, v2, v24
	v_fma_f16 v2, v5, -0.5, v2
	v_add_f16_e32 v5, v6, v25
	v_add_f16_e32 v3, v3, v26
	;; [unrolled: 1-line block ×4, first 2 shown]
	v_sub_f16_e32 v4, v24, v26
	v_sub_f16_e32 v13, v25, v27
	v_pack_b32_f16 v3, v5, v3
	v_fma_f16 v5, v12, -0.5, v6
	v_fma_f16 v6, v4, s1, v5
	v_fma_f16 v12, v13, s0, v2
	v_pack_b32_f16 v6, v6, v12
	ds_write2_b32 v178, v3, v6 offset1:90
	v_fma_f16 v3, v4, s0, v5
	v_fma_f16 v2, v13, s1, v2
	v_pack_b32_f16 v2, v3, v2
	ds_write_b32 v178, v2 offset:720
	v_add_f16_e32 v2, v28, v30
	v_lshrrev_b32_e32 v3, 16, v7
	v_fma_f16 v2, v2, -0.5, v7
	v_add_f16_e32 v4, v7, v28
	v_add_f16_e32 v5, v3, v29
	;; [unrolled: 1-line block ×4, first 2 shown]
	v_sub_f16_e32 v6, v29, v31
	v_fma_f16 v3, v7, -0.5, v3
	v_add_f16_e32 v4, v4, v30
	v_sub_f16_e32 v7, v28, v30
	v_pack_b32_f16 v4, v4, v5
	v_fma_f16 v5, v6, s1, v2
	v_fma_f16 v12, v7, s0, v3
	v_fma_f16 v2, v6, s0, v2
	v_fma_f16 v3, v7, s1, v3
	v_pack_b32_f16 v5, v5, v12
	v_pack_b32_f16 v2, v2, v3
	ds_write2_b32 v179, v4, v5 offset1:90
	ds_write_b32 v179, v2 offset:720
	v_lshrrev_b32_e32 v2, 16, v8
	v_add_f16_e32 v5, v32, v34
	v_add_f16_e32 v3, v2, v32
	v_fma_f16 v2, v5, -0.5, v2
	v_add_f16_e32 v5, v8, v33
	v_add_f16_e32 v3, v3, v34
	;; [unrolled: 1-line block ×4, first 2 shown]
	v_sub_f16_e32 v4, v32, v34
	v_sub_f16_e32 v7, v33, v35
	v_pack_b32_f16 v3, v5, v3
	v_fma_f16 v5, v6, -0.5, v8
	v_fma_f16 v6, v4, s1, v5
	v_fma_f16 v8, v7, s0, v2
	v_pack_b32_f16 v6, v6, v8
	ds_write2_b32 v180, v3, v6 offset1:90
	v_fma_f16 v3, v4, s0, v5
	v_fma_f16 v2, v7, s1, v2
	v_pack_b32_f16 v2, v3, v2
	v_lshrrev_b32_e32 v3, 16, v9
	ds_write_b32 v180, v2 offset:720
	v_add_f16_e32 v2, v36, v38
	v_add_f16_e32 v4, v9, v36
	;; [unrolled: 1-line block ×4, first 2 shown]
	v_fma_f16 v2, v2, -0.5, v9
	v_add_f16_e32 v5, v5, v39
	v_sub_f16_e32 v6, v37, v39
	v_fma_f16 v3, v7, -0.5, v3
	v_add_f16_e32 v4, v4, v38
	v_sub_f16_e32 v7, v36, v38
	v_pack_b32_f16 v4, v4, v5
	v_fma_f16 v5, v6, s1, v2
	v_fma_f16 v8, v7, s0, v3
	;; [unrolled: 1-line block ×4, first 2 shown]
	v_pack_b32_f16 v5, v5, v8
	v_pack_b32_f16 v2, v2, v3
	ds_write2_b32 v181, v4, v5 offset1:90
	ds_write_b32 v181, v2 offset:720
	v_lshrrev_b32_e32 v2, 16, v10
	v_add_f16_e32 v5, v40, v42
	v_add_f16_e32 v3, v2, v40
	v_fma_f16 v2, v5, -0.5, v2
	v_add_f16_e32 v5, v10, v41
	v_add_f16_e32 v3, v3, v42
	;; [unrolled: 1-line block ×4, first 2 shown]
	v_sub_f16_e32 v4, v40, v42
	v_sub_f16_e32 v7, v41, v43
	v_pack_b32_f16 v3, v5, v3
	v_fma_f16 v5, v6, -0.5, v10
	v_fma_f16 v6, v4, s1, v5
	v_fma_f16 v8, v7, s0, v2
	v_pack_b32_f16 v6, v6, v8
	ds_write2_b32 v182, v3, v6 offset1:90
	v_fma_f16 v3, v4, s0, v5
	v_fma_f16 v2, v7, s1, v2
	v_pack_b32_f16 v2, v3, v2
	v_lshrrev_b32_e32 v3, 16, v11
	ds_write_b32 v182, v2 offset:720
	v_add_f16_e32 v2, v44, v46
	v_add_f16_e32 v4, v11, v44
	;; [unrolled: 1-line block ×4, first 2 shown]
	v_fma_f16 v2, v2, -0.5, v11
	v_add_f16_e32 v5, v5, v47
	v_sub_f16_e32 v6, v45, v47
	v_fma_f16 v3, v7, -0.5, v3
	v_add_f16_e32 v4, v4, v46
	v_sub_f16_e32 v7, v44, v46
	v_pack_b32_f16 v4, v4, v5
	v_fma_f16 v5, v6, s1, v2
	v_fma_f16 v8, v7, s0, v3
	;; [unrolled: 1-line block ×4, first 2 shown]
	v_pack_b32_f16 v5, v5, v8
	v_pack_b32_f16 v2, v2, v3
	ds_write2_b32 v184, v4, v5 offset0:112 offset1:202
	ds_write_b32 v183, v2 offset:9360
	s_waitcnt lgkmcnt(0)
	s_barrier
	ds_read2_b32 v[2:3], v130 offset0:42 offset1:123
	ds_read2_b32 v[4:5], v145 offset0:84 offset1:165
	s_waitcnt lgkmcnt(1)
	v_lshrrev_b32_e32 v6, 16, v2
	v_mul_f16_sdwa v7, v58, v2 dst_sel:DWORD dst_unused:UNUSED_PAD src0_sel:WORD_1 src1_sel:DWORD
	v_fma_f16 v7, v58, v6, -v7
	v_mul_f16_sdwa v6, v58, v6 dst_sel:DWORD dst_unused:UNUSED_PAD src0_sel:WORD_1 src1_sel:DWORD
	v_fma_f16 v6, v58, v2, v6
	s_waitcnt lgkmcnt(0)
	v_lshrrev_b32_e32 v2, 16, v4
	v_mul_f16_sdwa v8, v59, v4 dst_sel:DWORD dst_unused:UNUSED_PAD src0_sel:WORD_1 src1_sel:DWORD
	v_fma_f16 v8, v59, v2, -v8
	v_mul_f16_sdwa v2, v59, v2 dst_sel:DWORD dst_unused:UNUSED_PAD src0_sel:WORD_1 src1_sel:DWORD
	v_fma_f16 v9, v59, v4, v2
	v_lshrrev_b32_e32 v2, 16, v3
	v_mul_f16_sdwa v4, v64, v2 dst_sel:DWORD dst_unused:UNUSED_PAD src0_sel:WORD_1 src1_sel:DWORD
	v_fma_f16 v10, v64, v3, v4
	v_mul_f16_sdwa v3, v64, v3 dst_sel:DWORD dst_unused:UNUSED_PAD src0_sel:WORD_1 src1_sel:DWORD
	v_lshrrev_b32_e32 v4, 16, v5
	v_fma_f16 v11, v64, v2, -v3
	ds_read2_b32 v[2:3], v148 offset0:76 offset1:157
	v_mul_f16_sdwa v12, v65, v4 dst_sel:DWORD dst_unused:UNUSED_PAD src0_sel:WORD_1 src1_sel:DWORD
	v_fma_f16 v12, v65, v5, v12
	v_mul_f16_sdwa v5, v65, v5 dst_sel:DWORD dst_unused:UNUSED_PAD src0_sel:WORD_1 src1_sel:DWORD
	v_fma_f16 v13, v65, v4, -v5
	ds_read2_b32 v[4:5], v126 offset0:118 offset1:199
	s_waitcnt lgkmcnt(1)
	v_lshrrev_b32_e32 v14, 16, v2
	v_mul_f16_sdwa v15, v90, v2 dst_sel:DWORD dst_unused:UNUSED_PAD src0_sel:WORD_1 src1_sel:DWORD
	v_fma_f16 v15, v90, v14, -v15
	v_mul_f16_sdwa v14, v90, v14 dst_sel:DWORD dst_unused:UNUSED_PAD src0_sel:WORD_1 src1_sel:DWORD
	v_fma_f16 v14, v90, v2, v14
	s_waitcnt lgkmcnt(0)
	v_lshrrev_b32_e32 v2, 16, v4
	v_mul_f16_sdwa v16, v91, v4 dst_sel:DWORD dst_unused:UNUSED_PAD src0_sel:WORD_1 src1_sel:DWORD
	v_fma_f16 v16, v91, v2, -v16
	v_mul_f16_sdwa v2, v91, v2 dst_sel:DWORD dst_unused:UNUSED_PAD src0_sel:WORD_1 src1_sel:DWORD
	v_fma_f16 v17, v91, v4, v2
	v_lshrrev_b32_e32 v2, 16, v3
	v_mul_f16_sdwa v4, v88, v2 dst_sel:DWORD dst_unused:UNUSED_PAD src0_sel:WORD_1 src1_sel:DWORD
	v_fma_f16 v18, v88, v3, v4
	v_mul_f16_sdwa v3, v88, v3 dst_sel:DWORD dst_unused:UNUSED_PAD src0_sel:WORD_1 src1_sel:DWORD
	v_lshrrev_b32_e32 v4, 16, v5
	v_fma_f16 v19, v88, v2, -v3
	ds_read2_b32 v[2:3], v147 offset0:110 offset1:191
	v_mul_f16_sdwa v20, v89, v4 dst_sel:DWORD dst_unused:UNUSED_PAD src0_sel:WORD_1 src1_sel:DWORD
	v_fma_f16 v20, v89, v5, v20
	v_mul_f16_sdwa v5, v89, v5 dst_sel:DWORD dst_unused:UNUSED_PAD src0_sel:WORD_1 src1_sel:DWORD
	v_fma_f16 v21, v89, v4, -v5
	;; [unrolled: 24-line block ×4, first 2 shown]
	ds_read2_b32 v[4:5], v121 offset0:92 offset1:173
	s_waitcnt lgkmcnt(1)
	v_lshrrev_b32_e32 v38, 16, v2
	v_mul_f16_sdwa v39, v86, v2 dst_sel:DWORD dst_unused:UNUSED_PAD src0_sel:WORD_1 src1_sel:DWORD
	v_fma_f16 v39, v86, v38, -v39
	v_mul_f16_sdwa v38, v86, v38 dst_sel:DWORD dst_unused:UNUSED_PAD src0_sel:WORD_1 src1_sel:DWORD
	v_fma_f16 v38, v86, v2, v38
	s_waitcnt lgkmcnt(0)
	v_lshrrev_b32_e32 v2, 16, v4
	v_mul_f16_sdwa v40, v87, v4 dst_sel:DWORD dst_unused:UNUSED_PAD src0_sel:WORD_1 src1_sel:DWORD
	v_fma_f16 v40, v87, v2, -v40
	v_mul_f16_sdwa v2, v87, v2 dst_sel:DWORD dst_unused:UNUSED_PAD src0_sel:WORD_1 src1_sel:DWORD
	v_fma_f16 v41, v87, v4, v2
	v_lshrrev_b32_e32 v2, 16, v3
	v_mul_f16_sdwa v4, v82, v2 dst_sel:DWORD dst_unused:UNUSED_PAD src0_sel:WORD_1 src1_sel:DWORD
	v_fma_f16 v42, v82, v3, v4
	v_mul_f16_sdwa v3, v82, v3 dst_sel:DWORD dst_unused:UNUSED_PAD src0_sel:WORD_1 src1_sel:DWORD
	v_fma_f16 v43, v82, v2, -v3
	ds_read2_b32 v[2:3], v0 offset1:81
	v_lshrrev_b32_e32 v4, 16, v5
	v_mul_f16_sdwa v44, v83, v4 dst_sel:DWORD dst_unused:UNUSED_PAD src0_sel:WORD_1 src1_sel:DWORD
	v_fma_f16 v44, v83, v5, v44
	v_mul_f16_sdwa v5, v83, v5 dst_sel:DWORD dst_unused:UNUSED_PAD src0_sel:WORD_1 src1_sel:DWORD
	v_fma_f16 v45, v83, v4, -v5
	v_add_f16_e32 v4, v6, v9
	s_waitcnt lgkmcnt(0)
	v_fma_f16 v4, v4, -0.5, v2
	v_sub_f16_e32 v5, v7, v8
	v_fma_f16 v46, v5, s1, v4
	v_fma_f16 v47, v5, s0, v4
	v_lshrrev_b32_e32 v4, 16, v2
	v_add_f16_e32 v5, v4, v7
	v_add_f16_e32 v7, v7, v8
	v_fma_f16 v4, v7, -0.5, v4
	v_add_f16_e32 v2, v2, v6
	v_sub_f16_e32 v6, v6, v9
	v_fma_f16 v7, v6, s0, v4
	v_add_f16_e32 v5, v5, v8
	v_add_f16_e32 v2, v2, v9
	v_fma_f16 v48, v6, s1, v4
	v_add_f16_e32 v4, v10, v12
	v_lshrrev_b32_e32 v50, 16, v3
	v_pack_b32_f16 v46, v46, v7
	v_fma_f16 v49, v4, -0.5, v3
	v_add_f16_e32 v51, v3, v10
	v_pack_b32_f16 v52, v2, v5
	ds_read2_b32 v[2:3], v0 offset0:162 offset1:243
	ds_read2_b32 v[4:5], v133 offset0:68 offset1:149
	;; [unrolled: 1-line block ×4, first 2 shown]
	s_waitcnt lgkmcnt(0)
	s_barrier
	ds_write_b32 v0, v46 offset:1080
	v_pack_b32_f16 v46, v47, v48
	v_add_f16_e32 v47, v50, v11
	ds_write_b32 v0, v46 offset:2160
	v_add_f16_e32 v46, v51, v12
	v_add_f16_e32 v47, v47, v13
	v_pack_b32_f16 v46, v46, v47
	v_sub_f16_e32 v10, v10, v12
	v_lshrrev_b32_e32 v12, 16, v2
	ds_write2_b32 v0, v52, v46 offset1:81
	v_sub_f16_e32 v46, v11, v13
	v_add_f16_e32 v11, v11, v13
	v_add_f16_e32 v13, v12, v15
	v_sub_f16_e32 v47, v15, v16
	v_add_f16_e32 v15, v15, v16
	v_fma_f16 v12, v15, -0.5, v12
	v_add_f16_e32 v15, v2, v14
	v_add_f16_e32 v13, v13, v16
	;; [unrolled: 1-line block ×4, first 2 shown]
	v_fma_f16 v11, v11, -0.5, v50
	v_sub_f16_e32 v14, v14, v17
	v_pack_b32_f16 v13, v15, v13
	v_fma_f16 v2, v16, -0.5, v2
	v_fma_f16 v17, v46, s1, v49
	v_fma_f16 v48, v10, s0, v11
	ds_write_b32 v0, v13 offset:648
	v_fma_f16 v13, v47, s1, v2
	v_fma_f16 v15, v14, s0, v12
	v_pack_b32_f16 v17, v17, v48
	v_pack_b32_f16 v13, v13, v15
	ds_write2_b32 v133, v17, v13 offset0:95 offset1:176
	v_fma_f16 v13, v46, s0, v49
	v_fma_f16 v10, v10, s1, v11
	;; [unrolled: 1-line block ×4, first 2 shown]
	v_pack_b32_f16 v10, v13, v10
	v_pack_b32_f16 v2, v2, v11
	ds_write2_b32 v149, v10, v2 offset0:109 offset1:190
	v_add_f16_e32 v2, v18, v20
	v_fma_f16 v2, v2, -0.5, v3
	v_lshrrev_b32_e32 v10, 16, v3
	v_sub_f16_e32 v11, v19, v21
	v_add_f16_e32 v13, v19, v21
	v_fma_f16 v12, v11, s1, v2
	v_fma_f16 v2, v11, s0, v2
	v_add_f16_e32 v11, v10, v19
	v_fma_f16 v10, v13, -0.5, v10
	v_sub_f16_e32 v13, v18, v20
	v_add_f16_e32 v3, v3, v18
	v_fma_f16 v14, v13, s0, v10
	v_fma_f16 v10, v13, s1, v10
	v_add_f16_e32 v11, v11, v21
	v_add_f16_e32 v3, v3, v20
	v_pack_b32_f16 v2, v2, v10
	v_pack_b32_f16 v3, v3, v11
	ds_write_b32 v185, v2 offset:2160
	v_add_f16_e32 v2, v22, v25
	v_lshrrev_b32_e32 v10, 16, v4
	ds_write_b32 v185, v3
	v_pack_b32_f16 v3, v12, v14
	v_fma_f16 v2, v2, -0.5, v4
	v_add_f16_e32 v4, v4, v22
	v_add_f16_e32 v12, v10, v23
	ds_write_b32 v185, v3 offset:1080
	v_add_f16_e32 v3, v26, v28
	v_lshrrev_b32_e32 v11, 16, v5
	v_add_f16_e32 v4, v4, v25
	v_add_f16_e32 v12, v12, v24
	v_fma_f16 v3, v3, -0.5, v5
	v_add_f16_e32 v5, v5, v26
	v_pack_b32_f16 v4, v4, v12
	v_add_f16_e32 v12, v11, v27
	v_add_f16_e32 v5, v5, v28
	;; [unrolled: 1-line block ×3, first 2 shown]
	v_pack_b32_f16 v5, v5, v12
	ds_write2_b32 v130, v4, v5 offset0:96 offset1:177
	v_add_f16_e32 v5, v23, v24
	v_sub_f16_e32 v4, v23, v24
	v_fma_f16 v5, v5, -0.5, v10
	v_sub_f16_e32 v10, v22, v25
	v_add_f16_e32 v13, v27, v29
	v_sub_f16_e32 v12, v27, v29
	v_fma_f16 v11, v13, -0.5, v11
	v_sub_f16_e32 v13, v26, v28
	v_fma_f16 v14, v4, s1, v2
	v_fma_f16 v15, v10, s0, v5
	v_pack_b32_f16 v14, v14, v15
	v_fma_f16 v15, v12, s1, v3
	v_fma_f16 v2, v4, s0, v2
	;; [unrolled: 1-line block ×5, first 2 shown]
	v_pack_b32_f16 v2, v2, v4
	v_pack_b32_f16 v3, v3, v5
	ds_write2_b32 v129, v2, v3 offset0:124 offset1:205
	v_add_f16_e32 v2, v30, v33
	v_fma_f16 v2, v2, -0.5, v6
	v_sub_f16_e32 v3, v31, v32
	v_fma_f16 v4, v3, s1, v2
	v_fma_f16 v2, v3, s0, v2
	v_lshrrev_b32_e32 v3, 16, v6
	v_add_f16_e32 v10, v31, v32
	v_add_f16_e32 v5, v3, v31
	v_fma_f16 v3, v10, -0.5, v3
	v_sub_f16_e32 v10, v30, v33
	v_fma_f16 v16, v13, s0, v11
	v_add_f16_e32 v6, v6, v30
	v_fma_f16 v11, v10, s0, v3
	v_fma_f16 v3, v10, s1, v3
	v_pack_b32_f16 v15, v15, v16
	v_add_f16_e32 v5, v5, v32
	v_add_f16_e32 v6, v6, v33
	v_pack_b32_f16 v2, v2, v3
	ds_write2_b32 v147, v14, v15 offset0:110 offset1:191
	v_pack_b32_f16 v5, v6, v5
	v_pack_b32_f16 v4, v4, v11
	ds_write_b32 v189, v2 offset:2160
	v_add_f16_e32 v2, v34, v36
	ds_write_b32 v189, v5
	ds_write_b32 v189, v4 offset:1080
	v_fma_f16 v2, v2, -0.5, v7
	v_lshrrev_b32_e32 v3, 16, v7
	v_add_f16_e32 v4, v7, v34
	v_sub_f16_e32 v5, v35, v37
	v_add_f16_e32 v7, v35, v37
	v_fma_f16 v6, v5, s1, v2
	v_fma_f16 v2, v5, s0, v2
	v_add_f16_e32 v5, v3, v35
	v_fma_f16 v3, v7, -0.5, v3
	v_sub_f16_e32 v7, v34, v36
	v_fma_f16 v10, v7, s0, v3
	v_fma_f16 v3, v7, s1, v3
	v_add_f16_e32 v5, v5, v37
	v_add_f16_e32 v4, v4, v36
	v_pack_b32_f16 v2, v2, v3
	v_pack_b32_f16 v4, v4, v5
	ds_write_b32 v188, v2 offset:8640
	v_add_f16_e32 v2, v38, v41
	ds_write_b32 v188, v4 offset:6480
	v_pack_b32_f16 v4, v6, v10
	v_fma_f16 v2, v2, -0.5, v8
	v_sub_f16_e32 v3, v39, v40
	ds_write_b32 v188, v4 offset:7560
	v_fma_f16 v4, v3, s1, v2
	v_fma_f16 v2, v3, s0, v2
	v_lshrrev_b32_e32 v3, 16, v8
	v_add_f16_e32 v6, v39, v40
	v_add_f16_e32 v5, v3, v39
	v_fma_f16 v3, v6, -0.5, v3
	v_sub_f16_e32 v7, v38, v41
	v_add_f16_e32 v6, v8, v38
	v_fma_f16 v8, v7, s0, v3
	v_fma_f16 v3, v7, s1, v3
	v_add_f16_e32 v7, v42, v44
	v_fma_f16 v7, v7, -0.5, v9
	v_lshrrev_b32_e32 v10, 16, v9
	v_sub_f16_e32 v11, v43, v45
	v_add_f16_e32 v9, v9, v42
	v_fma_f16 v12, v11, s1, v7
	v_fma_f16 v7, v11, s0, v7
	v_add_f16_e32 v11, v10, v43
	v_add_f16_e32 v13, v43, v45
	;; [unrolled: 1-line block ×5, first 2 shown]
	v_fma_f16 v10, v13, -0.5, v10
	v_add_f16_e32 v9, v9, v44
	v_sub_f16_e32 v13, v42, v44
	v_pack_b32_f16 v2, v2, v3
	v_fma_f16 v14, v13, s0, v10
	v_pack_b32_f16 v5, v6, v5
	ds_write_b32 v186, v2 offset:8640
	v_pack_b32_f16 v2, v9, v11
	v_fma_f16 v10, v13, s1, v10
	ds_write_b32 v186, v5 offset:6480
	v_pack_b32_f16 v4, v4, v8
	ds_write_b32 v187, v2 offset:6480
	v_pack_b32_f16 v2, v12, v14
	ds_write_b32 v186, v4 offset:7560
	ds_write_b32 v187, v2 offset:7560
	v_pack_b32_f16 v2, v7, v10
	ds_write_b32 v187, v2 offset:8640
	s_waitcnt lgkmcnt(0)
	s_barrier
	ds_read2_b32 v[2:3], v130 offset0:42 offset1:123
	ds_read2_b32 v[4:5], v145 offset0:84 offset1:165
	s_waitcnt lgkmcnt(1)
	v_lshrrev_b32_e32 v6, 16, v2
	v_mul_f16_sdwa v10, v78, v6 dst_sel:DWORD dst_unused:UNUSED_PAD src0_sel:WORD_1 src1_sel:DWORD
	v_fma_f16 v10, v78, v2, v10
	v_mul_f16_sdwa v2, v78, v2 dst_sel:DWORD dst_unused:UNUSED_PAD src0_sel:WORD_1 src1_sel:DWORD
	s_waitcnt lgkmcnt(0)
	v_lshrrev_b32_e32 v7, 16, v4
	v_fma_f16 v6, v78, v6, -v2
	v_mul_f16_sdwa v2, v79, v4 dst_sel:DWORD dst_unused:UNUSED_PAD src0_sel:WORD_1 src1_sel:DWORD
	v_lshrrev_b32_e32 v8, 16, v3
	v_fma_f16 v11, v79, v7, -v2
	v_mul_f16_sdwa v2, v79, v7 dst_sel:DWORD dst_unused:UNUSED_PAD src0_sel:WORD_1 src1_sel:DWORD
	v_lshrrev_b32_e32 v9, 16, v5
	v_fma_f16 v7, v79, v4, v2
	v_mul_f16_sdwa v2, v76, v8 dst_sel:DWORD dst_unused:UNUSED_PAD src0_sel:WORD_1 src1_sel:DWORD
	v_mul_f16_sdwa v4, v76, v3 dst_sel:DWORD dst_unused:UNUSED_PAD src0_sel:WORD_1 src1_sel:DWORD
	v_fma_f16 v12, v76, v3, v2
	ds_read2_b32 v[2:3], v148 offset0:76 offset1:157
	v_fma_f16 v13, v76, v8, -v4
	v_mul_f16_sdwa v4, v77, v9 dst_sel:DWORD dst_unused:UNUSED_PAD src0_sel:WORD_1 src1_sel:DWORD
	v_fma_f16 v14, v77, v5, v4
	v_mul_f16_sdwa v4, v77, v5 dst_sel:DWORD dst_unused:UNUSED_PAD src0_sel:WORD_1 src1_sel:DWORD
	v_fma_f16 v15, v77, v9, -v4
	ds_read2_b32 v[4:5], v126 offset0:118 offset1:199
	s_waitcnt lgkmcnt(1)
	v_lshrrev_b32_e32 v8, 16, v2
	v_mul_f16_sdwa v9, v74, v2 dst_sel:DWORD dst_unused:UNUSED_PAD src0_sel:WORD_1 src1_sel:DWORD
	v_fma_f16 v16, v74, v8, -v9
	v_mul_f16_sdwa v8, v74, v8 dst_sel:DWORD dst_unused:UNUSED_PAD src0_sel:WORD_1 src1_sel:DWORD
	v_fma_f16 v17, v74, v2, v8
	s_waitcnt lgkmcnt(0)
	v_lshrrev_b32_e32 v2, 16, v4
	v_mul_f16_sdwa v8, v75, v4 dst_sel:DWORD dst_unused:UNUSED_PAD src0_sel:WORD_1 src1_sel:DWORD
	v_fma_f16 v18, v75, v2, -v8
	v_mul_f16_sdwa v2, v75, v2 dst_sel:DWORD dst_unused:UNUSED_PAD src0_sel:WORD_1 src1_sel:DWORD
	v_fma_f16 v19, v75, v4, v2
	v_lshrrev_b32_e32 v2, 16, v3
	v_mul_f16_sdwa v4, v72, v2 dst_sel:DWORD dst_unused:UNUSED_PAD src0_sel:WORD_1 src1_sel:DWORD
	v_fma_f16 v20, v72, v3, v4
	v_mul_f16_sdwa v3, v72, v3 dst_sel:DWORD dst_unused:UNUSED_PAD src0_sel:WORD_1 src1_sel:DWORD
	v_lshrrev_b32_e32 v4, 16, v5
	v_fma_f16 v21, v72, v2, -v3
	ds_read2_b32 v[2:3], v147 offset0:110 offset1:191
	v_mul_f16_sdwa v8, v73, v4 dst_sel:DWORD dst_unused:UNUSED_PAD src0_sel:WORD_1 src1_sel:DWORD
	v_fma_f16 v22, v73, v5, v8
	v_mul_f16_sdwa v5, v73, v5 dst_sel:DWORD dst_unused:UNUSED_PAD src0_sel:WORD_1 src1_sel:DWORD
	v_fma_f16 v23, v73, v4, -v5
	ds_read2_b32 v[4:5], v143 offset0:152 offset1:233
	s_waitcnt lgkmcnt(1)
	v_lshrrev_b32_e32 v8, 16, v2
	v_mul_f16_sdwa v9, v92, v2 dst_sel:DWORD dst_unused:UNUSED_PAD src0_sel:WORD_1 src1_sel:DWORD
	v_fma_f16 v24, v92, v8, -v9
	v_mul_f16_sdwa v8, v92, v8 dst_sel:DWORD dst_unused:UNUSED_PAD src0_sel:WORD_1 src1_sel:DWORD
	v_fma_f16 v25, v92, v2, v8
	s_waitcnt lgkmcnt(0)
	v_lshrrev_b32_e32 v2, 16, v4
	v_mul_f16_sdwa v8, v93, v4 dst_sel:DWORD dst_unused:UNUSED_PAD src0_sel:WORD_1 src1_sel:DWORD
	v_fma_f16 v26, v93, v2, -v8
	v_mul_f16_sdwa v2, v93, v2 dst_sel:DWORD dst_unused:UNUSED_PAD src0_sel:WORD_1 src1_sel:DWORD
	v_fma_f16 v27, v93, v4, v2
	v_lshrrev_b32_e32 v2, 16, v3
	v_mul_f16_sdwa v4, v94, v2 dst_sel:DWORD dst_unused:UNUSED_PAD src0_sel:WORD_1 src1_sel:DWORD
	v_fma_f16 v28, v94, v3, v4
	v_mul_f16_sdwa v3, v94, v3 dst_sel:DWORD dst_unused:UNUSED_PAD src0_sel:WORD_1 src1_sel:DWORD
	v_lshrrev_b32_e32 v4, 16, v5
	v_fma_f16 v29, v94, v2, -v3
	ds_read2_b32 v[2:3], v129 offset0:16 offset1:97
	;; [unrolled: 24-line block ×3, first 2 shown]
	v_mul_f16_sdwa v8, v99, v4 dst_sel:DWORD dst_unused:UNUSED_PAD src0_sel:WORD_1 src1_sel:DWORD
	v_fma_f16 v38, v99, v5, v8
	v_mul_f16_sdwa v5, v99, v5 dst_sel:DWORD dst_unused:UNUSED_PAD src0_sel:WORD_1 src1_sel:DWORD
	v_fma_f16 v39, v99, v4, -v5
	ds_read2_b32 v[4:5], v121 offset0:92 offset1:173
	s_waitcnt lgkmcnt(1)
	v_lshrrev_b32_e32 v8, 16, v2
	v_mul_f16_sdwa v9, v100, v2 dst_sel:DWORD dst_unused:UNUSED_PAD src0_sel:WORD_1 src1_sel:DWORD
	v_fma_f16 v40, v100, v8, -v9
	v_mul_f16_sdwa v8, v100, v8 dst_sel:DWORD dst_unused:UNUSED_PAD src0_sel:WORD_1 src1_sel:DWORD
	v_fma_f16 v41, v100, v2, v8
	s_waitcnt lgkmcnt(0)
	v_lshrrev_b32_e32 v2, 16, v4
	v_mul_f16_sdwa v8, v101, v4 dst_sel:DWORD dst_unused:UNUSED_PAD src0_sel:WORD_1 src1_sel:DWORD
	v_fma_f16 v42, v101, v2, -v8
	v_mul_f16_sdwa v2, v101, v2 dst_sel:DWORD dst_unused:UNUSED_PAD src0_sel:WORD_1 src1_sel:DWORD
	v_fma_f16 v43, v101, v4, v2
	v_lshrrev_b32_e32 v2, 16, v3
	v_mul_f16_sdwa v4, v102, v2 dst_sel:DWORD dst_unused:UNUSED_PAD src0_sel:WORD_1 src1_sel:DWORD
	v_fma_f16 v44, v102, v3, v4
	v_mul_f16_sdwa v3, v102, v3 dst_sel:DWORD dst_unused:UNUSED_PAD src0_sel:WORD_1 src1_sel:DWORD
	v_fma_f16 v45, v102, v2, -v3
	ds_read2_b32 v[2:3], v0 offset1:81
	v_lshrrev_b32_e32 v4, 16, v5
	v_mul_f16_sdwa v8, v103, v4 dst_sel:DWORD dst_unused:UNUSED_PAD src0_sel:WORD_1 src1_sel:DWORD
	v_fma_f16 v46, v103, v5, v8
	v_mul_f16_sdwa v5, v103, v5 dst_sel:DWORD dst_unused:UNUSED_PAD src0_sel:WORD_1 src1_sel:DWORD
	v_fma_f16 v47, v103, v4, -v5
	v_add_f16_e32 v4, v10, v7
	s_waitcnt lgkmcnt(0)
	v_fma_f16 v4, v4, -0.5, v2
	v_sub_f16_e32 v5, v6, v11
	v_fma_f16 v8, v5, s1, v4
	v_fma_f16 v48, v5, s0, v4
	v_lshrrev_b32_e32 v4, 16, v2
	v_add_f16_e32 v5, v4, v6
	v_add_f16_e32 v6, v6, v11
	v_fma_f16 v4, v6, -0.5, v4
	v_sub_f16_e32 v6, v10, v7
	v_add_f16_e32 v2, v2, v10
	v_fma_f16 v10, v6, s1, v4
	v_lshrrev_b32_e32 v49, 16, v3
	v_add_f16_e32 v5, v5, v11
	v_add_f16_e32 v2, v2, v7
	v_fma_f16 v7, v6, s0, v4
	v_add_f16_e32 v4, v12, v14
	v_add_f16_e32 v50, v3, v12
	v_pack_b32_f16 v10, v48, v10
	v_add_f16_e32 v48, v49, v13
	v_fma_f16 v11, v4, -0.5, v3
	v_pack_b32_f16 v51, v2, v5
	v_pack_b32_f16 v52, v8, v7
	ds_read2_b32 v[2:3], v0 offset0:162 offset1:243
	ds_read2_b32 v[4:5], v133 offset0:68 offset1:149
	ds_read2_b32 v[6:7], v150 offset0:102 offset1:183
	ds_read2_b32 v[8:9], v149 offset0:136 offset1:217
	ds_write_b32 v0, v10 offset:6480
	v_add_f16_e32 v10, v50, v14
	v_add_f16_e32 v48, v48, v15
	v_pack_b32_f16 v10, v10, v48
	ds_write_b32 v0, v52 offset:3240
	ds_write2_b32 v0, v51, v10 offset1:81
	v_sub_f16_e32 v10, v13, v15
	v_add_f16_e32 v13, v13, v15
	v_fma_f16 v13, v13, -0.5, v49
	v_sub_f16_e32 v12, v12, v14
	v_fma_f16 v14, v10, s1, v11
	v_fma_f16 v15, v12, s0, v13
	v_pack_b32_f16 v14, v14, v15
	v_add_f16_e32 v15, v17, v19
	s_waitcnt lgkmcnt(6)
	v_lshrrev_b32_e32 v48, 16, v2
	v_add_f16_e32 v49, v16, v18
	v_fma_f16 v15, v15, -0.5, v2
	v_fma_f16 v49, v49, -0.5, v48
	v_sub_f16_e32 v50, v16, v18
	v_sub_f16_e32 v52, v17, v19
	v_fma_f16 v10, v10, s0, v11
	v_fma_f16 v11, v12, s1, v13
	v_fma_f16 v12, v50, s0, v15
	v_fma_f16 v13, v52, s1, v49
	v_pack_b32_f16 v10, v10, v11
	v_pack_b32_f16 v11, v12, v13
	ds_write2_b32 v145, v10, v11 offset0:165 offset1:246
	v_add_f16_e32 v2, v2, v17
	v_add_f16_e32 v10, v48, v16
	;; [unrolled: 1-line block ×5, first 2 shown]
	v_lshrrev_b32_e32 v12, 16, v3
	v_fma_f16 v11, v11, -0.5, v3
	v_add_f16_e32 v3, v3, v20
	v_pack_b32_f16 v2, v2, v10
	v_add_f16_e32 v10, v12, v21
	v_fma_f16 v51, v50, s1, v15
	v_fma_f16 v53, v52, s0, v49
	v_add_f16_e32 v3, v3, v22
	v_add_f16_e32 v10, v10, v23
	v_pack_b32_f16 v51, v51, v53
	v_pack_b32_f16 v3, v3, v10
	ds_write2_b32 v130, v14, v51 offset0:123 offset1:204
	ds_write2_b32 v0, v2, v3 offset0:162 offset1:243
	v_add_f16_e32 v3, v21, v23
	v_sub_f16_e32 v2, v21, v23
	v_fma_f16 v3, v3, -0.5, v12
	v_sub_f16_e32 v10, v20, v22
	v_fma_f16 v12, v2, s1, v11
	v_fma_f16 v13, v10, s0, v3
	v_pack_b32_f16 v12, v12, v13
	v_add_f16_e32 v13, v25, v27
	s_waitcnt lgkmcnt(8)
	v_lshrrev_b32_e32 v14, 16, v4
	v_add_f16_e32 v15, v24, v26
	v_fma_f16 v13, v13, -0.5, v4
	v_fma_f16 v15, v15, -0.5, v14
	v_sub_f16_e32 v16, v24, v26
	v_sub_f16_e32 v18, v25, v27
	v_fma_f16 v17, v16, s1, v13
	v_fma_f16 v19, v18, s0, v15
	v_pack_b32_f16 v17, v17, v19
	ds_write2_b32 v147, v12, v17 offset0:29 offset1:110
	v_fma_f16 v2, v2, s0, v11
	v_fma_f16 v3, v10, s1, v3
	;; [unrolled: 1-line block ×4, first 2 shown]
	v_add_f16_e32 v13, v28, v30
	v_pack_b32_f16 v2, v2, v3
	v_pack_b32_f16 v3, v10, v12
	v_add_f16_e32 v11, v14, v24
	v_fma_f16 v13, v13, -0.5, v5
	v_lshrrev_b32_e32 v14, 16, v5
	v_sub_f16_e32 v15, v29, v31
	v_add_f16_e32 v17, v29, v31
	ds_write2_b32 v143, v2, v3 offset0:71 offset1:152
	v_add_f16_e32 v2, v33, v35
	v_fma_f16 v16, v15, s1, v13
	v_fma_f16 v13, v15, s0, v13
	v_add_f16_e32 v15, v14, v29
	v_fma_f16 v14, v17, -0.5, v14
	v_sub_f16_e32 v17, v28, v30
	s_waitcnt lgkmcnt(9)
	v_fma_f16 v2, v2, -0.5, v6
	v_sub_f16_e32 v3, v32, v34
	v_fma_f16 v18, v17, s0, v14
	v_fma_f16 v14, v17, s1, v14
	;; [unrolled: 1-line block ×4, first 2 shown]
	v_lshrrev_b32_e32 v3, 16, v6
	v_add_f16_e32 v17, v32, v34
	v_add_f16_e32 v12, v3, v32
	v_fma_f16 v3, v17, -0.5, v3
	v_sub_f16_e32 v17, v33, v35
	v_fma_f16 v19, v17, s0, v3
	v_fma_f16 v3, v17, s1, v3
	v_add_f16_e32 v17, v36, v38
	v_fma_f16 v17, v17, -0.5, v7
	v_lshrrev_b32_e32 v20, 16, v7
	v_sub_f16_e32 v21, v37, v39
	v_add_f16_e32 v23, v37, v39
	v_fma_f16 v22, v21, s1, v17
	v_fma_f16 v17, v21, s0, v17
	v_add_f16_e32 v21, v20, v37
	v_fma_f16 v20, v23, -0.5, v20
	v_sub_f16_e32 v23, v36, v38
	v_fma_f16 v24, v23, s0, v20
	v_fma_f16 v20, v23, s1, v20
	v_add_f16_e32 v23, v41, v43
	v_add_f16_e32 v4, v4, v25
	s_waitcnt lgkmcnt(8)
	v_fma_f16 v23, v23, -0.5, v8
	v_sub_f16_e32 v25, v40, v42
	v_add_f16_e32 v11, v11, v26
	v_add_f16_e32 v5, v5, v28
	v_fma_f16 v26, v25, s1, v23
	v_fma_f16 v23, v25, s0, v23
	v_lshrrev_b32_e32 v25, 16, v8
	v_add_f16_e32 v28, v40, v42
	v_add_f16_e32 v4, v4, v27
	;; [unrolled: 1-line block ×5, first 2 shown]
	v_fma_f16 v25, v28, -0.5, v25
	v_sub_f16_e32 v28, v41, v43
	v_add_f16_e32 v6, v6, v33
	v_add_f16_e32 v7, v7, v36
	v_fma_f16 v29, v28, s0, v25
	v_fma_f16 v25, v28, s1, v25
	v_add_f16_e32 v28, v44, v46
	v_pack_b32_f16 v4, v4, v11
	v_pack_b32_f16 v5, v5, v15
	v_add_f16_e32 v12, v12, v34
	v_add_f16_e32 v6, v6, v35
	;; [unrolled: 1-line block ×4, first 2 shown]
	v_fma_f16 v28, v28, -0.5, v9
	v_lshrrev_b32_e32 v30, 16, v9
	v_sub_f16_e32 v31, v45, v47
	ds_write2_b32 v133, v4, v5 offset0:68 offset1:149
	v_pack_b32_f16 v5, v13, v14
	v_pack_b32_f16 v2, v2, v3
	v_add_f16_e32 v8, v8, v41
	v_add_f16_e32 v9, v9, v44
	v_fma_f16 v32, v31, s1, v28
	v_fma_f16 v28, v31, s0, v28
	v_add_f16_e32 v31, v30, v45
	v_add_f16_e32 v33, v45, v47
	v_pack_b32_f16 v4, v16, v18
	v_pack_b32_f16 v6, v6, v12
	;; [unrolled: 1-line block ×3, first 2 shown]
	ds_write2_b32 v151, v5, v2 offset0:105 offset1:186
	v_pack_b32_f16 v2, v7, v21
	v_add_f16_e32 v27, v27, v42
	v_add_f16_e32 v8, v8, v43
	;; [unrolled: 1-line block ×3, first 2 shown]
	v_fma_f16 v30, v33, -0.5, v30
	v_add_f16_e32 v9, v9, v46
	v_sub_f16_e32 v33, v44, v46
	ds_write2_b32 v190, v4, v10 offset0:63 offset1:144
	ds_write2_b32 v150, v6, v2 offset0:102 offset1:183
	v_pack_b32_f16 v2, v22, v24
	v_pack_b32_f16 v3, v17, v20
	;; [unrolled: 1-line block ×3, first 2 shown]
	v_fma_f16 v34, v33, s0, v30
	ds_write_b32 v0, v3 offset:8748
	v_pack_b32_f16 v3, v8, v27
	ds_write2_b32 v129, v2, v4 offset0:97 offset1:178
	v_pack_b32_f16 v4, v9, v31
	v_fma_f16 v30, v33, s1, v30
	ds_write2_b32 v149, v3, v4 offset0:136 offset1:217
	v_pack_b32_f16 v3, v32, v34
	v_pack_b32_f16 v2, v23, v25
	ds_write_b32 v0, v3 offset:6156
	v_pack_b32_f16 v3, v28, v30
	ds_write2_b32 v121, v2, v3 offset0:92 offset1:173
	s_waitcnt lgkmcnt(0)
	s_barrier
	ds_read2_b32 v[5:6], v0 offset1:81
	v_mov_b32_e32 v15, 0x7c00
	s_waitcnt lgkmcnt(0)
	v_lshrrev_b32_e32 v9, 16, v5
	v_mul_f16_sdwa v2, v144, v9 dst_sel:DWORD dst_unused:UNUSED_PAD src0_sel:WORD_1 src1_sel:DWORD
	v_fma_f16 v2, v144, v5, v2
	v_cvt_f32_f16_e32 v4, v2
	v_mad_u64_u32 v[2:3], s[0:1], s10, v1, 0
	v_mul_f16_sdwa v5, v144, v5 dst_sel:DWORD dst_unused:UNUSED_PAD src0_sel:WORD_1 src1_sel:DWORD
	v_cvt_f64_f32_e32 v[7:8], v4
	v_mad_u64_u32 v[3:4], s[0:1], s11, v1, v[3:4]
	v_fma_f16 v5, v144, v9, -v5
	v_mul_f64 v[7:8], v[7:8], s[2:3]
	v_cvt_f32_f16_e32 v5, v5
	s_movk_i32 s10, 0x40f
	s_mov_b32 s11, 0x8000
	v_lshlrev_b64 v[2:3], 2, v[2:3]
	v_and_or_b32 v1, v8, s6, v7
	v_cmp_ne_u32_e32 vcc, 0, v1
	v_cndmask_b32_e64 v1, 0, 1, vcc
	v_lshrrev_b32_e32 v4, 8, v8
	v_bfe_u32 v7, v8, 20, 11
	v_and_or_b32 v1, v4, s7, v1
	v_sub_u32_e32 v10, 0x3f1, v7
	v_or_b32_e32 v4, 0x1000, v1
	v_med3_i32 v10, v10, 0, 13
	v_lshrrev_b32_e32 v11, v10, v4
	v_lshlrev_b32_e32 v10, v10, v11
	v_cmp_ne_u32_e32 vcc, v10, v4
	v_cndmask_b32_e64 v4, 0, 1, vcc
	v_add_u32_e32 v7, 0xfffffc10, v7
	v_or_b32_e32 v4, v11, v4
	v_lshl_or_b32 v10, v7, 12, v1
	v_cmp_gt_i32_e32 vcc, 1, v7
	v_cndmask_b32_e32 v4, v10, v4, vcc
	v_and_b32_e32 v10, 7, v4
	v_cmp_lt_i32_e32 vcc, 5, v10
	v_cmp_eq_u32_e64 s[0:1], 3, v10
	v_lshrrev_b32_e32 v4, 2, v4
	s_or_b64 vcc, s[0:1], vcc
	v_addc_co_u32_e32 v9, vcc, 0, v4, vcc
	v_cvt_f64_f32_e32 v[4:5], v5
	v_cmp_gt_i32_e32 vcc, 31, v7
	v_cndmask_b32_e32 v9, v15, v9, vcc
	v_cmp_ne_u32_e32 vcc, 0, v1
	v_mul_f64 v[4:5], v[4:5], s[2:3]
	v_cndmask_b32_e64 v1, 0, 1, vcc
	v_lshl_or_b32 v1, v1, 9, v15
	v_cmp_eq_u32_e32 vcc, s10, v7
	v_cndmask_b32_e32 v1, v9, v1, vcc
	v_lshrrev_b32_e32 v7, 16, v8
	v_and_or_b32 v9, v7, s11, v1
	v_and_b32_e32 v9, 0xffff, v9
	v_and_or_b32 v1, v5, s6, v4
	v_cmp_ne_u32_e32 vcc, 0, v1
	v_cndmask_b32_e64 v1, 0, 1, vcc
	v_lshrrev_b32_e32 v4, 8, v5
	v_bfe_u32 v7, v5, 20, 11
	v_and_or_b32 v1, v4, s7, v1
	v_sub_u32_e32 v8, 0x3f1, v7
	v_or_b32_e32 v4, 0x1000, v1
	v_med3_i32 v8, v8, 0, 13
	v_lshrrev_b32_e32 v10, v8, v4
	v_lshlrev_b32_e32 v8, v8, v10
	v_cmp_ne_u32_e32 vcc, v8, v4
	v_cndmask_b32_e64 v4, 0, 1, vcc
	v_or_b32_e32 v4, v10, v4
	v_add_u32_e32 v10, 0xfffffc10, v7
	v_lshl_or_b32 v7, v10, 12, v1
	v_cmp_gt_i32_e32 vcc, 1, v10
	v_cndmask_b32_e32 v4, v7, v4, vcc
	v_and_b32_e32 v7, 7, v4
	v_cmp_lt_i32_e32 vcc, 5, v7
	v_cmp_eq_u32_e64 s[0:1], 3, v7
	v_lshrrev_b32_e32 v4, 2, v4
	s_or_b64 vcc, s[0:1], vcc
	v_addc_co_u32_e32 v4, vcc, 0, v4, vcc
	v_cmp_gt_i32_e32 vcc, 31, v10
	v_cndmask_b32_e32 v4, v15, v4, vcc
	v_cmp_ne_u32_e32 vcc, 0, v1
	v_cndmask_b32_e64 v1, 0, 1, vcc
	v_lshl_or_b32 v1, v1, 9, v15
	v_cmp_eq_u32_e32 vcc, s10, v10
	v_mad_u64_u32 v[7:8], s[0:1], s8, v142, 0
	v_cndmask_b32_e32 v10, v4, v1, vcc
	ds_read2_b32 v[0:1], v0 offset0:162 offset1:243
	v_mov_b32_e32 v4, v8
	v_lshrrev_b32_e32 v11, 16, v5
	v_mad_u64_u32 v[4:5], s[0:1], s9, v142, v[4:5]
	s_waitcnt lgkmcnt(0)
	v_lshrrev_b32_e32 v12, 16, v1
	v_mul_f16_sdwa v5, v141, v12 dst_sel:DWORD dst_unused:UNUSED_PAD src0_sel:WORD_1 src1_sel:DWORD
	v_fma_f16 v5, v141, v1, v5
	v_cvt_f32_f16_e32 v5, v5
	v_mov_b32_e32 v8, v4
	v_and_or_b32 v10, v11, s11, v10
	v_lshl_or_b32 v9, v10, 16, v9
	v_cvt_f64_f32_e32 v[4:5], v5
	v_mov_b32_e32 v10, s5
	v_add_co_u32_e32 v11, vcc, s4, v2
	v_mul_f64 v[4:5], v[4:5], s[2:3]
	v_addc_co_u32_e32 v10, vcc, v10, v3, vcc
	v_lshlrev_b64 v[2:3], 2, v[7:8]
	v_mul_f16_sdwa v1, v141, v1 dst_sel:DWORD dst_unused:UNUSED_PAD src0_sel:WORD_1 src1_sel:DWORD
	v_add_co_u32_e32 v2, vcc, v11, v2
	v_addc_co_u32_e32 v3, vcc, v10, v3, vcc
	v_and_or_b32 v4, v5, s6, v4
	v_cmp_ne_u32_e32 vcc, 0, v4
	v_cndmask_b32_e64 v4, 0, 1, vcc
	v_lshrrev_b32_e32 v7, 8, v5
	v_bfe_u32 v8, v5, 20, 11
	global_store_dword v[2:3], v9, off
	v_and_or_b32 v4, v7, s7, v4
	v_sub_u32_e32 v9, 0x3f1, v8
	v_or_b32_e32 v7, 0x1000, v4
	v_med3_i32 v9, v9, 0, 13
	v_lshrrev_b32_e32 v10, v9, v7
	v_lshlrev_b32_e32 v9, v9, v10
	v_cmp_ne_u32_e32 vcc, v9, v7
	v_cndmask_b32_e64 v7, 0, 1, vcc
	v_fma_f16 v1, v141, v12, -v1
	v_or_b32_e32 v7, v10, v7
	v_add_u32_e32 v10, 0xfffffc10, v8
	v_cvt_f32_f16_e32 v1, v1
	v_lshl_or_b32 v8, v10, 12, v4
	v_cmp_gt_i32_e32 vcc, 1, v10
	v_cndmask_b32_e32 v7, v8, v7, vcc
	v_and_b32_e32 v8, 7, v7
	v_cmp_lt_i32_e32 vcc, 5, v8
	v_cmp_eq_u32_e64 s[0:1], 3, v8
	v_lshrrev_b32_e32 v9, 2, v7
	v_cvt_f64_f32_e32 v[7:8], v1
	s_or_b64 vcc, s[0:1], vcc
	v_addc_co_u32_e32 v1, vcc, 0, v9, vcc
	v_mul_f64 v[8:9], v[7:8], s[2:3]
	v_cmp_gt_i32_e32 vcc, 31, v10
	v_cndmask_b32_e32 v1, v15, v1, vcc
	v_cmp_ne_u32_e32 vcc, 0, v4
	v_cndmask_b32_e64 v4, 0, 1, vcc
	v_lshl_or_b32 v4, v4, 9, v15
	v_cmp_eq_u32_e32 vcc, s10, v10
	v_cndmask_b32_e32 v1, v1, v4, vcc
	v_lshrrev_b32_e32 v4, 16, v5
	v_and_or_b32 v1, v4, s11, v1
	v_and_or_b32 v4, v9, s6, v8
	v_cmp_ne_u32_e32 vcc, 0, v4
	v_cndmask_b32_e64 v4, 0, 1, vcc
	v_lshrrev_b32_e32 v5, 8, v9
	v_bfe_u32 v7, v9, 20, 11
	v_and_or_b32 v4, v5, s7, v4
	v_sub_u32_e32 v8, 0x3f1, v7
	v_or_b32_e32 v5, 0x1000, v4
	v_med3_i32 v8, v8, 0, 13
	v_lshrrev_b32_e32 v10, v8, v5
	v_lshlrev_b32_e32 v8, v8, v10
	v_cmp_ne_u32_e32 vcc, v8, v5
	v_cndmask_b32_e64 v5, 0, 1, vcc
	v_or_b32_e32 v5, v10, v5
	v_add_u32_e32 v10, 0xfffffc10, v7
	v_lshl_or_b32 v7, v10, 12, v4
	v_cmp_gt_i32_e32 vcc, 1, v10
	v_cndmask_b32_e32 v5, v7, v5, vcc
	v_and_b32_e32 v7, 7, v5
	v_cmp_lt_i32_e32 vcc, 5, v7
	v_cmp_eq_u32_e64 s[0:1], 3, v7
	v_lshrrev_b32_e32 v5, 2, v5
	s_or_b64 vcc, s[0:1], vcc
	ds_read2_b32 v[7:8], v150 offset0:102 offset1:183
	v_addc_co_u32_e32 v5, vcc, 0, v5, vcc
	v_cmp_gt_i32_e32 vcc, 31, v10
	v_cndmask_b32_e32 v5, v15, v5, vcc
	v_cmp_ne_u32_e32 vcc, 0, v4
	v_cndmask_b32_e64 v4, 0, 1, vcc
	v_lshl_or_b32 v4, v4, 9, v15
	v_cmp_eq_u32_e32 vcc, s10, v10
	s_waitcnt lgkmcnt(0)
	v_lshrrev_b32_e32 v11, 16, v7
	v_cndmask_b32_e32 v4, v5, v4, vcc
	v_lshrrev_b32_e32 v5, 16, v9
	v_mul_f16_sdwa v9, v139, v11 dst_sel:DWORD dst_unused:UNUSED_PAD src0_sel:WORD_1 src1_sel:DWORD
	v_fma_f16 v9, v139, v7, v9
	v_cvt_f32_f16_e32 v9, v9
	v_and_or_b32 v4, v5, s11, v4
	v_and_b32_e32 v1, 0xffff, v1
	v_lshl_or_b32 v1, v4, 16, v1
	v_cvt_f64_f32_e32 v[4:5], v9
	s_mul_i32 s0, s9, 0x3cc
	s_mul_hi_u32 s4, s8, 0x3cc
	s_add_i32 s4, s4, s0
	v_mul_f64 v[4:5], v[4:5], s[2:3]
	s_mul_i32 s5, s8, 0x3cc
	v_mov_b32_e32 v10, s4
	v_add_co_u32_e32 v9, vcc, s5, v2
	v_addc_co_u32_e32 v10, vcc, v3, v10, vcc
	global_store_dword v[9:10], v1, off
	v_and_or_b32 v1, v5, s6, v4
	v_cmp_ne_u32_e32 vcc, 0, v1
	v_cndmask_b32_e64 v1, 0, 1, vcc
	v_lshrrev_b32_e32 v2, 8, v5
	v_and_or_b32 v4, v2, s7, v1
	v_bfe_u32 v2, v5, 20, 11
	v_sub_u32_e32 v3, 0x3f1, v2
	v_or_b32_e32 v1, 0x1000, v4
	v_med3_i32 v3, v3, 0, 13
	v_lshrrev_b32_e32 v12, v3, v1
	v_lshlrev_b32_e32 v3, v3, v12
	v_cmp_ne_u32_e32 vcc, v3, v1
	v_mul_f16_sdwa v3, v139, v7 dst_sel:DWORD dst_unused:UNUSED_PAD src0_sel:WORD_1 src1_sel:DWORD
	v_cndmask_b32_e64 v1, 0, 1, vcc
	v_fma_f16 v3, v139, v11, -v3
	v_or_b32_e32 v1, v12, v1
	v_add_u32_e32 v12, 0xfffffc10, v2
	v_cvt_f32_f16_e32 v3, v3
	v_lshl_or_b32 v2, v12, 12, v4
	v_cmp_gt_i32_e32 vcc, 1, v12
	v_cndmask_b32_e32 v1, v2, v1, vcc
	v_and_b32_e32 v2, 7, v1
	v_cmp_lt_i32_e32 vcc, 5, v2
	v_cmp_eq_u32_e64 s[0:1], 3, v2
	v_lshrrev_b32_e32 v7, 2, v1
	v_cvt_f64_f32_e32 v[1:2], v3
	s_or_b64 vcc, s[0:1], vcc
	v_addc_co_u32_e32 v3, vcc, 0, v7, vcc
	v_cmp_gt_i32_e32 vcc, 31, v12
	v_cndmask_b32_e32 v7, v15, v3, vcc
	v_mul_f64 v[2:3], v[1:2], s[2:3]
	v_cmp_ne_u32_e32 vcc, 0, v4
	v_cndmask_b32_e64 v1, 0, 1, vcc
	v_lshl_or_b32 v1, v1, 9, v15
	v_cmp_eq_u32_e32 vcc, s10, v12
	v_cndmask_b32_e32 v1, v7, v1, vcc
	v_lshrrev_b32_e32 v4, 16, v5
	v_and_or_b32 v7, v4, s11, v1
	v_and_or_b32 v1, v3, s6, v2
	v_cmp_ne_u32_e32 vcc, 0, v1
	v_cndmask_b32_e64 v1, 0, 1, vcc
	v_lshrrev_b32_e32 v2, 8, v3
	v_and_or_b32 v4, v2, s7, v1
	v_bfe_u32 v2, v3, 20, 11
	v_sub_u32_e32 v5, 0x3f1, v2
	v_or_b32_e32 v1, 0x1000, v4
	v_med3_i32 v5, v5, 0, 13
	v_lshrrev_b32_e32 v11, v5, v1
	v_lshlrev_b32_e32 v5, v5, v11
	v_cmp_ne_u32_e32 vcc, v5, v1
	v_cndmask_b32_e64 v1, 0, 1, vcc
	v_add_u32_e32 v5, 0xfffffc10, v2
	v_or_b32_e32 v1, v11, v1
	v_lshl_or_b32 v2, v5, 12, v4
	v_cmp_gt_i32_e32 vcc, 1, v5
	v_cndmask_b32_e32 v1, v2, v1, vcc
	v_and_b32_e32 v2, 7, v1
	v_cmp_lt_i32_e32 vcc, 5, v2
	v_cmp_eq_u32_e64 s[0:1], 3, v2
	v_lshrrev_b32_e32 v1, 2, v1
	s_or_b64 vcc, s[0:1], vcc
	v_addc_co_u32_e32 v11, vcc, 0, v1, vcc
	ds_read2_b32 v[1:2], v149 offset0:136 offset1:217
	v_cmp_gt_i32_e32 vcc, 31, v5
	v_cndmask_b32_e32 v11, v15, v11, vcc
	v_cmp_ne_u32_e32 vcc, 0, v4
	v_cndmask_b32_e64 v4, 0, 1, vcc
	s_waitcnt lgkmcnt(0)
	v_lshrrev_b32_e32 v13, 16, v2
	v_mul_f16_sdwa v12, v137, v13 dst_sel:DWORD dst_unused:UNUSED_PAD src0_sel:WORD_1 src1_sel:DWORD
	v_fma_f16 v12, v137, v2, v12
	v_cvt_f32_f16_e32 v12, v12
	v_lshl_or_b32 v4, v4, 9, v15
	v_cmp_eq_u32_e32 vcc, s10, v5
	v_cndmask_b32_e32 v11, v11, v4, vcc
	v_cvt_f64_f32_e32 v[4:5], v12
	v_lshrrev_b32_e32 v3, 16, v3
	v_and_or_b32 v11, v3, s11, v11
	v_and_b32_e32 v7, 0xffff, v7
	v_mul_f64 v[3:4], v[4:5], s[2:3]
	v_lshl_or_b32 v5, v11, 16, v7
	v_mov_b32_e32 v7, s4
	v_add_co_u32_e32 v11, vcc, s5, v9
	v_addc_co_u32_e32 v12, vcc, v10, v7, vcc
	global_store_dword v[11:12], v5, off
	v_and_or_b32 v3, v4, s6, v3
	v_cmp_ne_u32_e32 vcc, 0, v3
	v_cndmask_b32_e64 v3, 0, 1, vcc
	v_lshrrev_b32_e32 v5, 8, v4
	v_bfe_u32 v7, v4, 20, 11
	v_and_or_b32 v5, v5, s7, v3
	v_sub_u32_e32 v9, 0x3f1, v7
	v_or_b32_e32 v3, 0x1000, v5
	v_med3_i32 v9, v9, 0, 13
	v_lshrrev_b32_e32 v10, v9, v3
	v_lshlrev_b32_e32 v9, v9, v10
	v_mul_f16_sdwa v2, v137, v2 dst_sel:DWORD dst_unused:UNUSED_PAD src0_sel:WORD_1 src1_sel:DWORD
	v_cmp_ne_u32_e32 vcc, v9, v3
	v_fma_f16 v2, v137, v13, -v2
	v_cndmask_b32_e64 v3, 0, 1, vcc
	v_add_u32_e32 v7, 0xfffffc10, v7
	v_cvt_f32_f16_e32 v2, v2
	v_or_b32_e32 v3, v10, v3
	v_lshl_or_b32 v9, v7, 12, v5
	v_cmp_gt_i32_e32 vcc, 1, v7
	v_cndmask_b32_e32 v3, v9, v3, vcc
	v_and_b32_e32 v9, 7, v3
	v_cmp_lt_i32_e32 vcc, 5, v9
	v_cmp_eq_u32_e64 s[0:1], 3, v9
	v_lshrrev_b32_e32 v9, 2, v3
	v_cvt_f64_f32_e32 v[2:3], v2
	s_or_b64 vcc, s[0:1], vcc
	v_addc_co_u32_e32 v9, vcc, 0, v9, vcc
	v_mul_f64 v[2:3], v[2:3], s[2:3]
	v_cmp_gt_i32_e32 vcc, 31, v7
	v_cndmask_b32_e32 v9, v15, v9, vcc
	v_cmp_ne_u32_e32 vcc, 0, v5
	v_cndmask_b32_e64 v5, 0, 1, vcc
	v_lshl_or_b32 v5, v5, 9, v15
	v_cmp_eq_u32_e32 vcc, s10, v7
	v_cndmask_b32_e32 v5, v9, v5, vcc
	v_and_or_b32 v2, v3, s6, v2
	v_lshrrev_b32_e32 v4, 16, v4
	v_cmp_ne_u32_e32 vcc, 0, v2
	v_and_or_b32 v7, v4, s11, v5
	v_cndmask_b32_e64 v2, 0, 1, vcc
	v_lshrrev_b32_e32 v4, 8, v3
	v_bfe_u32 v5, v3, 20, 11
	v_and_or_b32 v2, v4, s7, v2
	v_sub_u32_e32 v9, 0x3f1, v5
	v_or_b32_e32 v4, 0x1000, v2
	v_med3_i32 v9, v9, 0, 13
	v_lshrrev_b32_e32 v10, v9, v4
	v_lshlrev_b32_e32 v9, v9, v10
	v_cmp_ne_u32_e32 vcc, v9, v4
	v_cndmask_b32_e64 v4, 0, 1, vcc
	v_add_u32_e32 v5, 0xfffffc10, v5
	v_or_b32_e32 v4, v10, v4
	v_lshl_or_b32 v9, v5, 12, v2
	v_cmp_gt_i32_e32 vcc, 1, v5
	v_cndmask_b32_e32 v4, v9, v4, vcc
	v_and_b32_e32 v9, 7, v4
	v_cmp_lt_i32_e32 vcc, 5, v9
	v_cmp_eq_u32_e64 s[0:1], 3, v9
	ds_read2_b32 v[9:10], v148 offset0:76 offset1:157
	v_lshrrev_b32_e32 v4, 2, v4
	s_or_b64 vcc, s[0:1], vcc
	v_addc_co_u32_e32 v4, vcc, 0, v4, vcc
	s_waitcnt lgkmcnt(0)
	v_lshrrev_b32_e32 v13, 16, v9
	v_mul_f16_sdwa v14, v134, v13 dst_sel:DWORD dst_unused:UNUSED_PAD src0_sel:WORD_1 src1_sel:DWORD
	v_fma_f16 v14, v134, v9, v14
	v_cmp_gt_i32_e32 vcc, 31, v5
	v_cvt_f32_f16_e32 v14, v14
	v_cndmask_b32_e32 v4, v15, v4, vcc
	v_cmp_ne_u32_e32 vcc, 0, v2
	v_cndmask_b32_e64 v2, 0, 1, vcc
	v_lshl_or_b32 v2, v2, 9, v15
	v_cmp_eq_u32_e32 vcc, s10, v5
	v_cndmask_b32_e32 v2, v4, v2, vcc
	v_cvt_f64_f32_e32 v[4:5], v14
	v_lshrrev_b32_e32 v3, 16, v3
	v_and_or_b32 v14, v3, s11, v2
	v_and_b32_e32 v7, 0xffff, v7
	v_mul_f64 v[2:3], v[4:5], s[2:3]
	v_mov_b32_e32 v5, s4
	v_add_co_u32_e32 v4, vcc, s5, v11
	v_addc_co_u32_e32 v5, vcc, v12, v5, vcc
	v_lshl_or_b32 v7, v14, 16, v7
	global_store_dword v[4:5], v7, off
	v_and_or_b32 v2, v3, s6, v2
	v_cmp_ne_u32_e32 vcc, 0, v2
	v_cndmask_b32_e64 v2, 0, 1, vcc
	v_lshrrev_b32_e32 v7, 8, v3
	v_bfe_u32 v11, v3, 20, 11
	v_and_or_b32 v2, v7, s7, v2
	v_sub_u32_e32 v12, 0x3f1, v11
	v_or_b32_e32 v7, 0x1000, v2
	v_med3_i32 v12, v12, 0, 13
	v_lshrrev_b32_e32 v14, v12, v7
	v_lshlrev_b32_e32 v12, v12, v14
	v_cmp_ne_u32_e32 vcc, v12, v7
	v_mul_f16_sdwa v9, v134, v9 dst_sel:DWORD dst_unused:UNUSED_PAD src0_sel:WORD_1 src1_sel:DWORD
	v_cndmask_b32_e64 v7, 0, 1, vcc
	v_fma_f16 v9, v134, v13, -v9
	v_or_b32_e32 v7, v14, v7
	v_add_u32_e32 v14, 0xfffffc10, v11
	v_cvt_f32_f16_e32 v9, v9
	v_lshl_or_b32 v11, v14, 12, v2
	v_cmp_gt_i32_e32 vcc, 1, v14
	v_cndmask_b32_e32 v7, v11, v7, vcc
	v_and_b32_e32 v11, 7, v7
	v_cmp_lt_i32_e32 vcc, 5, v11
	v_cmp_eq_u32_e64 s[0:1], 3, v11
	v_cvt_f64_f32_e32 v[11:12], v9
	v_lshrrev_b32_e32 v7, 2, v7
	s_or_b64 vcc, s[0:1], vcc
	v_addc_co_u32_e32 v7, vcc, 0, v7, vcc
	v_mul_f64 v[11:12], v[11:12], s[2:3]
	v_cmp_gt_i32_e32 vcc, 31, v14
	v_cndmask_b32_e32 v7, v15, v7, vcc
	v_cmp_ne_u32_e32 vcc, 0, v2
	v_cndmask_b32_e64 v2, 0, 1, vcc
	v_lshl_or_b32 v2, v2, 9, v15
	v_cmp_eq_u32_e32 vcc, s10, v14
	v_cndmask_b32_e32 v2, v7, v2, vcc
	v_lshrrev_b32_e32 v3, 16, v3
	v_and_or_b32 v7, v3, s11, v2
	v_and_or_b32 v2, v12, s6, v11
	v_cmp_ne_u32_e32 vcc, 0, v2
	v_cndmask_b32_e64 v2, 0, 1, vcc
	v_lshrrev_b32_e32 v3, 8, v12
	v_and_or_b32 v9, v3, s7, v2
	v_bfe_u32 v3, v12, 20, 11
	v_sub_u32_e32 v11, 0x3f1, v3
	v_or_b32_e32 v2, 0x1000, v9
	v_med3_i32 v11, v11, 0, 13
	v_lshrrev_b32_e32 v13, v11, v2
	v_lshlrev_b32_e32 v11, v11, v13
	v_cmp_ne_u32_e32 vcc, v11, v2
	v_cndmask_b32_e64 v2, 0, 1, vcc
	v_add_u32_e32 v11, 0xfffffc10, v3
	v_or_b32_e32 v2, v13, v2
	v_lshl_or_b32 v3, v11, 12, v9
	v_cmp_gt_i32_e32 vcc, 1, v11
	v_cndmask_b32_e32 v2, v3, v2, vcc
	v_and_b32_e32 v3, 7, v2
	v_cmp_lt_i32_e32 vcc, 5, v3
	v_cmp_eq_u32_e64 s[0:1], 3, v3
	v_lshrrev_b32_e32 v2, 2, v2
	s_or_b64 vcc, s[0:1], vcc
	v_addc_co_u32_e32 v13, vcc, 0, v2, vcc
	ds_read2_b32 v[2:3], v147 offset0:110 offset1:191
	v_cmp_gt_i32_e32 vcc, 31, v11
	v_cndmask_b32_e32 v13, v15, v13, vcc
	v_cmp_ne_u32_e32 vcc, 0, v9
	v_cndmask_b32_e64 v9, 0, 1, vcc
	s_waitcnt lgkmcnt(0)
	v_lshrrev_b32_e32 v16, 16, v3
	v_mul_f16_sdwa v14, v138, v16 dst_sel:DWORD dst_unused:UNUSED_PAD src0_sel:WORD_1 src1_sel:DWORD
	v_fma_f16 v14, v138, v3, v14
	v_cvt_f32_f16_e32 v14, v14
	v_lshl_or_b32 v9, v9, 9, v15
	v_cmp_eq_u32_e32 vcc, s10, v11
	v_cndmask_b32_e32 v9, v13, v9, vcc
	v_cvt_f64_f32_e32 v[13:14], v14
	v_lshrrev_b32_e32 v11, 16, v12
	v_and_or_b32 v9, v11, s11, v9
	v_and_b32_e32 v7, 0xffff, v7
	v_mul_f64 v[11:12], v[13:14], s[2:3]
	v_lshl_or_b32 v7, v9, 16, v7
	v_mov_b32_e32 v9, s4
	v_add_co_u32_e32 v4, vcc, s5, v4
	v_addc_co_u32_e32 v5, vcc, v5, v9, vcc
	global_store_dword v[4:5], v7, off
	v_and_or_b32 v7, v12, s6, v11
	v_cmp_ne_u32_e32 vcc, 0, v7
	v_cndmask_b32_e64 v7, 0, 1, vcc
	v_lshrrev_b32_e32 v9, 8, v12
	v_bfe_u32 v11, v12, 20, 11
	v_and_or_b32 v7, v9, s7, v7
	v_sub_u32_e32 v13, 0x3f1, v11
	v_or_b32_e32 v9, 0x1000, v7
	v_med3_i32 v13, v13, 0, 13
	v_lshrrev_b32_e32 v14, v13, v9
	v_lshlrev_b32_e32 v13, v13, v14
	v_mul_f16_sdwa v3, v138, v3 dst_sel:DWORD dst_unused:UNUSED_PAD src0_sel:WORD_1 src1_sel:DWORD
	v_cmp_ne_u32_e32 vcc, v13, v9
	v_fma_f16 v3, v138, v16, -v3
	v_cndmask_b32_e64 v9, 0, 1, vcc
	v_add_u32_e32 v11, 0xfffffc10, v11
	v_cvt_f32_f16_e32 v3, v3
	v_or_b32_e32 v9, v14, v9
	v_lshl_or_b32 v13, v11, 12, v7
	v_cmp_gt_i32_e32 vcc, 1, v11
	v_cndmask_b32_e32 v9, v13, v9, vcc
	v_and_b32_e32 v13, 7, v9
	v_cmp_lt_i32_e32 vcc, 5, v13
	v_cmp_eq_u32_e64 s[0:1], 3, v13
	v_cvt_f64_f32_e32 v[13:14], v3
	v_lshrrev_b32_e32 v9, 2, v9
	s_or_b64 vcc, s[0:1], vcc
	v_addc_co_u32_e32 v3, vcc, 0, v9, vcc
	v_mul_f64 v[13:14], v[13:14], s[2:3]
	v_cmp_gt_i32_e32 vcc, 31, v11
	v_cndmask_b32_e32 v3, v15, v3, vcc
	v_cmp_ne_u32_e32 vcc, 0, v7
	v_cndmask_b32_e64 v7, 0, 1, vcc
	v_lshl_or_b32 v7, v7, 9, v15
	v_cmp_eq_u32_e32 vcc, s10, v11
	v_cndmask_b32_e32 v3, v3, v7, vcc
	v_lshrrev_b32_e32 v7, 16, v12
	v_and_or_b32 v3, v7, s11, v3
	v_and_or_b32 v7, v14, s6, v13
	v_cmp_ne_u32_e32 vcc, 0, v7
	v_cndmask_b32_e64 v7, 0, 1, vcc
	v_lshrrev_b32_e32 v9, 8, v14
	v_bfe_u32 v11, v14, 20, 11
	v_and_or_b32 v7, v9, s7, v7
	v_sub_u32_e32 v12, 0x3f1, v11
	v_or_b32_e32 v9, 0x1000, v7
	v_med3_i32 v12, v12, 0, 13
	v_lshrrev_b32_e32 v13, v12, v9
	v_lshlrev_b32_e32 v12, v12, v13
	v_cmp_ne_u32_e32 vcc, v12, v9
	v_cndmask_b32_e64 v9, 0, 1, vcc
	v_or_b32_e32 v9, v13, v9
	v_add_u32_e32 v13, 0xfffffc10, v11
	v_lshl_or_b32 v11, v13, 12, v7
	v_cmp_gt_i32_e32 vcc, 1, v13
	v_cndmask_b32_e32 v9, v11, v9, vcc
	v_and_b32_e32 v11, 7, v9
	v_cmp_lt_i32_e32 vcc, 5, v11
	v_cmp_eq_u32_e64 s[0:1], 3, v11
	ds_read2_b32 v[11:12], v146 offset0:50 offset1:131
	v_lshrrev_b32_e32 v9, 2, v9
	s_or_b64 vcc, s[0:1], vcc
	v_addc_co_u32_e32 v9, vcc, 0, v9, vcc
	s_waitcnt lgkmcnt(0)
	v_lshrrev_b32_e32 v18, 16, v11
	v_mul_f16_sdwa v16, v136, v18 dst_sel:DWORD dst_unused:UNUSED_PAD src0_sel:WORD_1 src1_sel:DWORD
	v_fma_f16 v16, v136, v11, v16
	v_cvt_f32_f16_e32 v16, v16
	v_cmp_gt_i32_e32 vcc, 31, v13
	v_cndmask_b32_e32 v9, v15, v9, vcc
	v_cmp_ne_u32_e32 vcc, 0, v7
	v_cvt_f64_f32_e32 v[16:17], v16
	v_cndmask_b32_e64 v7, 0, 1, vcc
	v_lshl_or_b32 v7, v7, 9, v15
	v_cmp_eq_u32_e32 vcc, s10, v13
	v_cndmask_b32_e32 v7, v9, v7, vcc
	v_lshrrev_b32_e32 v9, 16, v14
	v_mul_f64 v[13:14], v[16:17], s[2:3]
	v_and_or_b32 v7, v9, s11, v7
	v_and_b32_e32 v3, 0xffff, v3
	v_lshl_or_b32 v3, v7, 16, v3
	v_mov_b32_e32 v7, s4
	v_add_co_u32_e32 v16, vcc, s5, v4
	v_addc_co_u32_e32 v17, vcc, v5, v7, vcc
	global_store_dword v[16:17], v3, off
	v_and_or_b32 v3, v14, s6, v13
	v_cmp_ne_u32_e32 vcc, 0, v3
	v_cndmask_b32_e64 v3, 0, 1, vcc
	v_lshrrev_b32_e32 v4, 8, v14
	v_and_or_b32 v7, v4, s7, v3
	v_bfe_u32 v4, v14, 20, 11
	v_sub_u32_e32 v5, 0x3f1, v4
	v_or_b32_e32 v3, 0x1000, v7
	v_med3_i32 v5, v5, 0, 13
	v_lshrrev_b32_e32 v9, v5, v3
	v_lshlrev_b32_e32 v5, v5, v9
	v_cmp_ne_u32_e32 vcc, v5, v3
	v_mul_f16_sdwa v5, v136, v11 dst_sel:DWORD dst_unused:UNUSED_PAD src0_sel:WORD_1 src1_sel:DWORD
	v_cndmask_b32_e64 v3, 0, 1, vcc
	v_fma_f16 v5, v136, v18, -v5
	v_or_b32_e32 v3, v9, v3
	v_add_u32_e32 v9, 0xfffffc10, v4
	v_cvt_f32_f16_e32 v5, v5
	v_lshl_or_b32 v4, v9, 12, v7
	v_cmp_gt_i32_e32 vcc, 1, v9
	v_cndmask_b32_e32 v3, v4, v3, vcc
	v_and_b32_e32 v4, 7, v3
	v_cmp_lt_i32_e32 vcc, 5, v4
	v_cmp_eq_u32_e64 s[0:1], 3, v4
	v_lshrrev_b32_e32 v11, 2, v3
	v_cvt_f64_f32_e32 v[3:4], v5
	s_or_b64 vcc, s[0:1], vcc
	v_addc_co_u32_e32 v5, vcc, 0, v11, vcc
	v_cmp_gt_i32_e32 vcc, 31, v9
	v_cndmask_b32_e32 v11, v15, v5, vcc
	v_mul_f64 v[4:5], v[3:4], s[2:3]
	v_cmp_ne_u32_e32 vcc, 0, v7
	v_cndmask_b32_e64 v3, 0, 1, vcc
	v_lshl_or_b32 v3, v3, 9, v15
	v_cmp_eq_u32_e32 vcc, s10, v9
	v_cndmask_b32_e32 v3, v11, v3, vcc
	v_lshrrev_b32_e32 v7, 16, v14
	v_and_or_b32 v7, v7, s11, v3
	v_and_or_b32 v3, v5, s6, v4
	v_cmp_ne_u32_e32 vcc, 0, v3
	v_cndmask_b32_e64 v3, 0, 1, vcc
	v_lshrrev_b32_e32 v4, 8, v5
	v_and_or_b32 v9, v4, s7, v3
	v_bfe_u32 v4, v5, 20, 11
	v_sub_u32_e32 v11, 0x3f1, v4
	v_or_b32_e32 v3, 0x1000, v9
	v_med3_i32 v11, v11, 0, 13
	v_lshrrev_b32_e32 v13, v11, v3
	v_lshlrev_b32_e32 v11, v11, v13
	v_cmp_ne_u32_e32 vcc, v11, v3
	v_cndmask_b32_e64 v3, 0, 1, vcc
	v_add_u32_e32 v11, 0xfffffc10, v4
	v_or_b32_e32 v3, v13, v3
	v_lshl_or_b32 v4, v11, 12, v9
	v_cmp_gt_i32_e32 vcc, 1, v11
	v_cndmask_b32_e32 v3, v4, v3, vcc
	v_and_b32_e32 v4, 7, v3
	v_cmp_lt_i32_e32 vcc, 5, v4
	v_cmp_eq_u32_e64 s[0:1], 3, v4
	v_lshrrev_b32_e32 v3, 2, v3
	s_or_b64 vcc, s[0:1], vcc
	v_addc_co_u32_e32 v13, vcc, 0, v3, vcc
	ds_read2_b32 v[3:4], v145 offset0:84 offset1:165
	v_cmp_gt_i32_e32 vcc, 31, v11
	v_cndmask_b32_e32 v13, v15, v13, vcc
	v_cmp_ne_u32_e32 vcc, 0, v9
	v_cndmask_b32_e64 v9, 0, 1, vcc
	s_waitcnt lgkmcnt(0)
	v_lshrrev_b32_e32 v18, 16, v4
	v_mul_f16_sdwa v14, v135, v18 dst_sel:DWORD dst_unused:UNUSED_PAD src0_sel:WORD_1 src1_sel:DWORD
	v_fma_f16 v14, v135, v4, v14
	v_cvt_f32_f16_e32 v14, v14
	v_lshl_or_b32 v9, v9, 9, v15
	v_cmp_eq_u32_e32 vcc, s10, v11
	v_cndmask_b32_e32 v9, v13, v9, vcc
	v_cvt_f64_f32_e32 v[13:14], v14
	v_lshrrev_b32_e32 v5, 16, v5
	v_and_or_b32 v5, v5, s11, v9
	v_and_b32_e32 v7, 0xffff, v7
	v_mul_f64 v[13:14], v[13:14], s[2:3]
	v_lshl_or_b32 v5, v5, 16, v7
	v_mov_b32_e32 v7, s4
	v_add_co_u32_e32 v16, vcc, s5, v16
	v_addc_co_u32_e32 v17, vcc, v17, v7, vcc
	global_store_dword v[16:17], v5, off
	v_and_or_b32 v5, v14, s6, v13
	v_cmp_ne_u32_e32 vcc, 0, v5
	v_cndmask_b32_e64 v5, 0, 1, vcc
	v_lshrrev_b32_e32 v7, 8, v14
	v_bfe_u32 v9, v14, 20, 11
	v_and_or_b32 v7, v7, s7, v5
	v_sub_u32_e32 v11, 0x3f1, v9
	v_or_b32_e32 v5, 0x1000, v7
	v_med3_i32 v11, v11, 0, 13
	v_lshrrev_b32_e32 v13, v11, v5
	v_lshlrev_b32_e32 v11, v11, v13
	v_mul_f16_sdwa v4, v135, v4 dst_sel:DWORD dst_unused:UNUSED_PAD src0_sel:WORD_1 src1_sel:DWORD
	v_cmp_ne_u32_e32 vcc, v11, v5
	v_fma_f16 v4, v135, v18, -v4
	v_cndmask_b32_e64 v5, 0, 1, vcc
	v_add_u32_e32 v9, 0xfffffc10, v9
	v_cvt_f32_f16_e32 v4, v4
	v_or_b32_e32 v5, v13, v5
	v_lshl_or_b32 v11, v9, 12, v7
	v_cmp_gt_i32_e32 vcc, 1, v9
	v_cndmask_b32_e32 v5, v11, v5, vcc
	v_and_b32_e32 v11, 7, v5
	v_cmp_lt_i32_e32 vcc, 5, v11
	v_cmp_eq_u32_e64 s[0:1], 3, v11
	v_lshrrev_b32_e32 v11, 2, v5
	v_cvt_f64_f32_e32 v[4:5], v4
	s_or_b64 vcc, s[0:1], vcc
	v_addc_co_u32_e32 v11, vcc, 0, v11, vcc
	v_mul_f64 v[4:5], v[4:5], s[2:3]
	v_cmp_gt_i32_e32 vcc, 31, v9
	v_cndmask_b32_e32 v11, v15, v11, vcc
	v_cmp_ne_u32_e32 vcc, 0, v7
	v_cndmask_b32_e64 v7, 0, 1, vcc
	v_lshl_or_b32 v7, v7, 9, v15
	v_cmp_eq_u32_e32 vcc, s10, v9
	v_cndmask_b32_e32 v7, v11, v7, vcc
	v_and_or_b32 v4, v5, s6, v4
	v_lshrrev_b32_e32 v9, 16, v14
	v_cmp_ne_u32_e32 vcc, 0, v4
	v_and_or_b32 v7, v9, s11, v7
	v_cndmask_b32_e64 v4, 0, 1, vcc
	v_lshrrev_b32_e32 v9, 8, v5
	v_bfe_u32 v11, v5, 20, 11
	v_and_or_b32 v4, v9, s7, v4
	v_sub_u32_e32 v13, 0x3f1, v11
	v_or_b32_e32 v9, 0x1000, v4
	v_med3_i32 v13, v13, 0, 13
	v_lshrrev_b32_e32 v14, v13, v9
	v_lshlrev_b32_e32 v13, v13, v14
	v_cmp_ne_u32_e32 vcc, v13, v9
	v_cndmask_b32_e64 v9, 0, 1, vcc
	v_add_u32_e32 v11, 0xfffffc10, v11
	v_or_b32_e32 v9, v14, v9
	v_lshl_or_b32 v13, v11, 12, v4
	v_cmp_gt_i32_e32 vcc, 1, v11
	v_cndmask_b32_e32 v9, v13, v9, vcc
	v_and_b32_e32 v13, 7, v9
	v_cmp_lt_i32_e32 vcc, 5, v13
	v_cmp_eq_u32_e64 s[0:1], 3, v13
	ds_read2_b32 v[13:14], v143 offset0:152 offset1:233
	v_lshrrev_b32_e32 v9, 2, v9
	s_or_b64 vcc, s[0:1], vcc
	v_addc_co_u32_e32 v9, vcc, 0, v9, vcc
	s_waitcnt lgkmcnt(0)
	v_lshrrev_b32_e32 v20, 16, v13
	v_mul_f16_sdwa v18, v132, v20 dst_sel:DWORD dst_unused:UNUSED_PAD src0_sel:WORD_1 src1_sel:DWORD
	v_fma_f16 v18, v132, v13, v18
	v_cvt_f32_f16_e32 v18, v18
	v_cmp_gt_i32_e32 vcc, 31, v11
	v_cndmask_b32_e32 v9, v15, v9, vcc
	v_cmp_ne_u32_e32 vcc, 0, v4
	v_cvt_f64_f32_e32 v[18:19], v18
	v_cndmask_b32_e64 v4, 0, 1, vcc
	v_lshl_or_b32 v4, v4, 9, v15
	v_cmp_eq_u32_e32 vcc, s10, v11
	v_cndmask_b32_e32 v4, v9, v4, vcc
	v_lshrrev_b32_e32 v5, 16, v5
	v_and_or_b32 v9, v5, s11, v4
	v_mul_f64 v[4:5], v[18:19], s[2:3]
	v_and_b32_e32 v7, 0xffff, v7
	v_lshl_or_b32 v7, v9, 16, v7
	v_mov_b32_e32 v9, s4
	v_add_co_u32_e32 v16, vcc, s5, v16
	v_addc_co_u32_e32 v17, vcc, v17, v9, vcc
	v_and_or_b32 v4, v5, s6, v4
	v_cmp_ne_u32_e32 vcc, 0, v4
	global_store_dword v[16:17], v7, off
	v_cndmask_b32_e64 v4, 0, 1, vcc
	v_lshrrev_b32_e32 v7, 8, v5
	v_bfe_u32 v9, v5, 20, 11
	v_and_or_b32 v4, v7, s7, v4
	v_sub_u32_e32 v11, 0x3f1, v9
	v_mul_f16_sdwa v13, v132, v13 dst_sel:DWORD dst_unused:UNUSED_PAD src0_sel:WORD_1 src1_sel:DWORD
	v_or_b32_e32 v7, 0x1000, v4
	v_med3_i32 v11, v11, 0, 13
	v_fma_f16 v13, v132, v20, -v13
	v_lshrrev_b32_e32 v18, v11, v7
	v_cvt_f32_f16_e32 v13, v13
	v_lshlrev_b32_e32 v11, v11, v18
	v_cmp_ne_u32_e32 vcc, v11, v7
	v_cndmask_b32_e64 v7, 0, 1, vcc
	v_or_b32_e32 v7, v18, v7
	v_add_u32_e32 v9, 0xfffffc10, v9
	v_cvt_f64_f32_e32 v[18:19], v13
	v_lshl_or_b32 v11, v9, 12, v4
	v_cmp_gt_i32_e32 vcc, 1, v9
	v_cndmask_b32_e32 v7, v11, v7, vcc
	v_and_b32_e32 v11, 7, v7
	v_cmp_lt_i32_e32 vcc, 5, v11
	v_cmp_eq_u32_e64 s[0:1], 3, v11
	v_mul_f64 v[18:19], v[18:19], s[2:3]
	v_lshrrev_b32_e32 v7, 2, v7
	s_or_b64 vcc, s[0:1], vcc
	v_addc_co_u32_e32 v7, vcc, 0, v7, vcc
	v_cmp_gt_i32_e32 vcc, 31, v9
	v_cndmask_b32_e32 v7, v15, v7, vcc
	v_cmp_ne_u32_e32 vcc, 0, v4
	v_cndmask_b32_e64 v4, 0, 1, vcc
	v_lshl_or_b32 v4, v4, 9, v15
	v_cmp_eq_u32_e32 vcc, s10, v9
	v_cndmask_b32_e32 v4, v7, v4, vcc
	v_lshrrev_b32_e32 v5, 16, v5
	v_and_or_b32 v7, v5, s11, v4
	v_and_or_b32 v4, v19, s6, v18
	v_cmp_ne_u32_e32 vcc, 0, v4
	v_cndmask_b32_e64 v4, 0, 1, vcc
	v_lshrrev_b32_e32 v5, 8, v19
	v_and_or_b32 v9, v5, s7, v4
	v_bfe_u32 v5, v19, 20, 11
	v_sub_u32_e32 v11, 0x3f1, v5
	v_or_b32_e32 v4, 0x1000, v9
	v_med3_i32 v11, v11, 0, 13
	v_lshrrev_b32_e32 v13, v11, v4
	v_lshlrev_b32_e32 v11, v11, v13
	v_cmp_ne_u32_e32 vcc, v11, v4
	v_cndmask_b32_e64 v4, 0, 1, vcc
	v_add_u32_e32 v11, 0xfffffc10, v5
	v_or_b32_e32 v4, v13, v4
	v_lshl_or_b32 v5, v11, 12, v9
	v_cmp_gt_i32_e32 vcc, 1, v11
	v_cndmask_b32_e32 v4, v5, v4, vcc
	v_and_b32_e32 v5, 7, v4
	v_cmp_lt_i32_e32 vcc, 5, v5
	v_cmp_eq_u32_e64 s[0:1], 3, v5
	v_lshrrev_b32_e32 v4, 2, v4
	s_or_b64 vcc, s[0:1], vcc
	v_addc_co_u32_e32 v13, vcc, 0, v4, vcc
	ds_read2_b32 v[4:5], v140 offset0:58 offset1:139
	v_cmp_gt_i32_e32 vcc, 31, v11
	v_cndmask_b32_e32 v13, v15, v13, vcc
	v_cmp_ne_u32_e32 vcc, 0, v9
	v_cndmask_b32_e64 v9, 0, 1, vcc
	s_waitcnt lgkmcnt(0)
	v_lshrrev_b32_e32 v22, 16, v5
	v_mul_f16_sdwa v18, v131, v22 dst_sel:DWORD dst_unused:UNUSED_PAD src0_sel:WORD_1 src1_sel:DWORD
	v_fma_f16 v18, v131, v5, v18
	v_cvt_f32_f16_e32 v18, v18
	v_cmp_eq_u32_e32 vcc, s10, v11
	v_lshrrev_b32_e32 v11, 16, v19
	v_lshl_or_b32 v9, v9, 9, v15
	v_cvt_f64_f32_e32 v[20:21], v18
	v_cndmask_b32_e32 v9, v13, v9, vcc
	v_and_or_b32 v9, v11, s11, v9
	v_and_b32_e32 v7, 0xffff, v7
	v_mul_f64 v[18:19], v[20:21], s[2:3]
	v_lshl_or_b32 v7, v9, 16, v7
	v_mov_b32_e32 v9, s4
	v_add_co_u32_e32 v16, vcc, s5, v16
	v_addc_co_u32_e32 v17, vcc, v17, v9, vcc
	global_store_dword v[16:17], v7, off
	v_and_or_b32 v7, v19, s6, v18
	v_cmp_ne_u32_e32 vcc, 0, v7
	v_cndmask_b32_e64 v7, 0, 1, vcc
	v_lshrrev_b32_e32 v9, 8, v19
	v_bfe_u32 v11, v19, 20, 11
	v_mul_f16_sdwa v5, v131, v5 dst_sel:DWORD dst_unused:UNUSED_PAD src0_sel:WORD_1 src1_sel:DWORD
	v_and_or_b32 v7, v9, s7, v7
	v_sub_u32_e32 v13, 0x3f1, v11
	v_fma_f16 v5, v131, v22, -v5
	v_or_b32_e32 v9, 0x1000, v7
	v_med3_i32 v13, v13, 0, 13
	v_cvt_f32_f16_e32 v5, v5
	v_lshrrev_b32_e32 v18, v13, v9
	v_lshlrev_b32_e32 v13, v13, v18
	v_cmp_ne_u32_e32 vcc, v13, v9
	v_cndmask_b32_e64 v9, 0, 1, vcc
	v_add_u32_e32 v11, 0xfffffc10, v11
	v_cvt_f64_f32_e32 v[20:21], v5
	v_or_b32_e32 v9, v18, v9
	v_lshl_or_b32 v13, v11, 12, v7
	v_cmp_gt_i32_e32 vcc, 1, v11
	v_cndmask_b32_e32 v9, v13, v9, vcc
	v_and_b32_e32 v13, 7, v9
	v_cmp_lt_i32_e32 vcc, 5, v13
	v_cmp_eq_u32_e64 s[0:1], 3, v13
	v_mul_f64 v[20:21], v[20:21], s[2:3]
	v_lshrrev_b32_e32 v9, 2, v9
	s_or_b64 vcc, s[0:1], vcc
	v_addc_co_u32_e32 v5, vcc, 0, v9, vcc
	v_cmp_gt_i32_e32 vcc, 31, v11
	v_cndmask_b32_e32 v5, v15, v5, vcc
	v_cmp_ne_u32_e32 vcc, 0, v7
	v_cndmask_b32_e64 v7, 0, 1, vcc
	v_lshl_or_b32 v7, v7, 9, v15
	v_cmp_eq_u32_e32 vcc, s10, v11
	v_cndmask_b32_e32 v5, v5, v7, vcc
	v_lshrrev_b32_e32 v7, 16, v19
	v_and_or_b32 v5, v7, s11, v5
	v_and_or_b32 v7, v21, s6, v20
	v_cmp_ne_u32_e32 vcc, 0, v7
	v_cndmask_b32_e64 v7, 0, 1, vcc
	v_lshrrev_b32_e32 v9, 8, v21
	v_bfe_u32 v11, v21, 20, 11
	v_and_or_b32 v7, v9, s7, v7
	v_sub_u32_e32 v13, 0x3f1, v11
	v_or_b32_e32 v9, 0x1000, v7
	v_med3_i32 v13, v13, 0, 13
	v_lshrrev_b32_e32 v18, v13, v9
	v_lshlrev_b32_e32 v13, v13, v18
	v_cmp_ne_u32_e32 vcc, v13, v9
	v_cndmask_b32_e64 v9, 0, 1, vcc
	v_add_u32_e32 v11, 0xfffffc10, v11
	v_or_b32_e32 v9, v18, v9
	v_lshl_or_b32 v13, v11, 12, v7
	v_cmp_gt_i32_e32 vcc, 1, v11
	v_cndmask_b32_e32 v9, v13, v9, vcc
	v_and_b32_e32 v13, 7, v9
	v_cmp_lt_i32_e32 vcc, 5, v13
	v_cmp_eq_u32_e64 s[0:1], 3, v13
	v_lshrrev_b32_e32 v13, 16, v6
	v_mul_f16_sdwa v18, v128, v13 dst_sel:DWORD dst_unused:UNUSED_PAD src0_sel:WORD_1 src1_sel:DWORD
	v_fma_f16 v18, v128, v6, v18
	v_cvt_f32_f16_e32 v18, v18
	v_lshrrev_b32_e32 v9, 2, v9
	s_or_b64 vcc, s[0:1], vcc
	v_addc_co_u32_e32 v9, vcc, 0, v9, vcc
	v_cvt_f64_f32_e32 v[18:19], v18
	v_cmp_gt_i32_e32 vcc, 31, v11
	v_cndmask_b32_e32 v9, v15, v9, vcc
	v_cmp_ne_u32_e32 vcc, 0, v7
	v_mul_f64 v[18:19], v[18:19], s[2:3]
	v_cndmask_b32_e64 v7, 0, 1, vcc
	v_lshl_or_b32 v7, v7, 9, v15
	v_cmp_eq_u32_e32 vcc, s10, v11
	v_cndmask_b32_e32 v7, v9, v7, vcc
	v_lshrrev_b32_e32 v9, 16, v21
	v_and_or_b32 v7, v9, s11, v7
	v_and_b32_e32 v5, 0xffff, v5
	v_lshl_or_b32 v5, v7, 16, v5
	v_mov_b32_e32 v7, s4
	v_add_co_u32_e32 v16, vcc, s5, v16
	v_addc_co_u32_e32 v17, vcc, v17, v7, vcc
	global_store_dword v[16:17], v5, off
	v_and_or_b32 v5, v19, s6, v18
	v_cmp_ne_u32_e32 vcc, 0, v5
	v_cndmask_b32_e64 v5, 0, 1, vcc
	v_lshrrev_b32_e32 v7, 8, v19
	v_and_or_b32 v9, v7, s7, v5
	v_bfe_u32 v7, v19, 20, 11
	v_sub_u32_e32 v11, 0x3f1, v7
	v_or_b32_e32 v5, 0x1000, v9
	v_med3_i32 v11, v11, 0, 13
	v_lshrrev_b32_e32 v18, v11, v5
	v_lshlrev_b32_e32 v11, v11, v18
	v_mul_f16_sdwa v6, v128, v6 dst_sel:DWORD dst_unused:UNUSED_PAD src0_sel:WORD_1 src1_sel:DWORD
	v_cmp_ne_u32_e32 vcc, v11, v5
	v_fma_f16 v6, v128, v13, -v6
	v_cndmask_b32_e64 v5, 0, 1, vcc
	v_add_u32_e32 v11, 0xfffffc10, v7
	v_cvt_f32_f16_e32 v6, v6
	v_or_b32_e32 v5, v18, v5
	v_lshl_or_b32 v7, v11, 12, v9
	v_cmp_gt_i32_e32 vcc, 1, v11
	v_cndmask_b32_e32 v5, v7, v5, vcc
	v_and_b32_e32 v7, 7, v5
	v_cmp_lt_i32_e32 vcc, 5, v7
	v_cmp_eq_u32_e64 s[0:1], 3, v7
	v_lshrrev_b32_e32 v7, 2, v5
	v_cvt_f64_f32_e32 v[5:6], v6
	s_or_b64 vcc, s[0:1], vcc
	v_addc_co_u32_e32 v7, vcc, 0, v7, vcc
	v_cmp_gt_i32_e32 vcc, 31, v11
	v_cndmask_b32_e32 v13, v15, v7, vcc
	v_mul_f64 v[6:7], v[5:6], s[2:3]
	v_cmp_ne_u32_e32 vcc, 0, v9
	v_cndmask_b32_e64 v5, 0, 1, vcc
	v_lshl_or_b32 v5, v5, 9, v15
	v_cmp_eq_u32_e32 vcc, s10, v11
	v_cndmask_b32_e32 v5, v13, v5, vcc
	v_lshrrev_b32_e32 v9, 16, v19
	v_and_or_b32 v9, v9, s11, v5
	v_and_or_b32 v5, v7, s6, v6
	v_cmp_ne_u32_e32 vcc, 0, v5
	v_cndmask_b32_e64 v5, 0, 1, vcc
	v_lshrrev_b32_e32 v6, 8, v7
	v_and_or_b32 v11, v6, s7, v5
	v_bfe_u32 v6, v7, 20, 11
	v_sub_u32_e32 v13, 0x3f1, v6
	v_or_b32_e32 v5, 0x1000, v11
	v_med3_i32 v13, v13, 0, 13
	v_lshrrev_b32_e32 v18, v13, v5
	v_lshlrev_b32_e32 v13, v13, v18
	v_cmp_ne_u32_e32 vcc, v13, v5
	v_cndmask_b32_e64 v5, 0, 1, vcc
	v_add_u32_e32 v13, 0xfffffc10, v6
	v_or_b32_e32 v5, v18, v5
	v_lshl_or_b32 v6, v13, 12, v11
	v_cmp_gt_i32_e32 vcc, 1, v13
	v_cndmask_b32_e32 v5, v6, v5, vcc
	v_and_b32_e32 v6, 7, v5
	v_cmp_lt_i32_e32 vcc, 5, v6
	v_cmp_eq_u32_e64 s[0:1], 3, v6
	v_lshrrev_b32_e32 v5, 2, v5
	s_or_b64 vcc, s[0:1], vcc
	v_addc_co_u32_e32 v18, vcc, 0, v5, vcc
	ds_read2_b32 v[5:6], v133 offset0:68 offset1:149
	v_cmp_gt_i32_e32 vcc, 31, v13
	v_cndmask_b32_e32 v18, v15, v18, vcc
	v_cmp_ne_u32_e32 vcc, 0, v11
	v_cndmask_b32_e64 v11, 0, 1, vcc
	s_waitcnt lgkmcnt(0)
	v_lshrrev_b32_e32 v20, 16, v5
	v_mul_f16_sdwa v19, v127, v20 dst_sel:DWORD dst_unused:UNUSED_PAD src0_sel:WORD_1 src1_sel:DWORD
	v_fma_f16 v19, v127, v5, v19
	v_cvt_f32_f16_e32 v19, v19
	v_lshl_or_b32 v11, v11, 9, v15
	v_cmp_eq_u32_e32 vcc, s10, v13
	v_cndmask_b32_e32 v11, v18, v11, vcc
	v_cvt_f64_f32_e32 v[18:19], v19
	v_mad_u64_u32 v[16:17], s[0:1], s8, v116, v[16:17]
	v_lshrrev_b32_e32 v7, 16, v7
	v_mul_f64 v[18:19], v[18:19], s[2:3]
	s_mul_i32 s0, s9, 0xffffdf18
	v_and_or_b32 v7, v7, s11, v11
	v_and_b32_e32 v9, 0xffff, v9
	s_sub_i32 s9, s0, s8
	v_lshl_or_b32 v7, v7, 16, v9
	v_add_u32_e32 v17, s9, v17
	global_store_dword v[16:17], v7, off
	v_and_or_b32 v7, v19, s6, v18
	v_cmp_ne_u32_e32 vcc, 0, v7
	v_cndmask_b32_e64 v7, 0, 1, vcc
	v_lshrrev_b32_e32 v9, 8, v19
	v_bfe_u32 v11, v19, 20, 11
	v_mul_f16_sdwa v5, v127, v5 dst_sel:DWORD dst_unused:UNUSED_PAD src0_sel:WORD_1 src1_sel:DWORD
	v_and_or_b32 v7, v9, s7, v7
	v_sub_u32_e32 v13, 0x3f1, v11
	v_fma_f16 v5, v127, v20, -v5
	v_or_b32_e32 v9, 0x1000, v7
	v_med3_i32 v13, v13, 0, 13
	v_cvt_f32_f16_e32 v5, v5
	v_lshrrev_b32_e32 v18, v13, v9
	v_lshlrev_b32_e32 v13, v13, v18
	v_cmp_ne_u32_e32 vcc, v13, v9
	v_cndmask_b32_e64 v9, 0, 1, vcc
	v_add_u32_e32 v11, 0xfffffc10, v11
	v_cvt_f64_f32_e32 v[20:21], v5
	v_or_b32_e32 v9, v18, v9
	v_lshl_or_b32 v13, v11, 12, v7
	v_cmp_gt_i32_e32 vcc, 1, v11
	v_cndmask_b32_e32 v9, v13, v9, vcc
	v_and_b32_e32 v13, 7, v9
	v_cmp_lt_i32_e32 vcc, 5, v13
	v_cmp_eq_u32_e64 s[0:1], 3, v13
	v_mul_f64 v[20:21], v[20:21], s[2:3]
	v_lshrrev_b32_e32 v9, 2, v9
	s_or_b64 vcc, s[0:1], vcc
	v_addc_co_u32_e32 v5, vcc, 0, v9, vcc
	v_cmp_gt_i32_e32 vcc, 31, v11
	v_cndmask_b32_e32 v5, v15, v5, vcc
	v_cmp_ne_u32_e32 vcc, 0, v7
	v_cndmask_b32_e64 v7, 0, 1, vcc
	v_lshl_or_b32 v7, v7, 9, v15
	v_cmp_eq_u32_e32 vcc, s10, v11
	v_cndmask_b32_e32 v5, v5, v7, vcc
	v_lshrrev_b32_e32 v7, 16, v19
	v_and_or_b32 v5, v7, s11, v5
	v_and_or_b32 v7, v21, s6, v20
	v_cmp_ne_u32_e32 vcc, 0, v7
	v_cndmask_b32_e64 v7, 0, 1, vcc
	v_lshrrev_b32_e32 v9, 8, v21
	v_bfe_u32 v11, v21, 20, 11
	v_and_or_b32 v7, v9, s7, v7
	v_sub_u32_e32 v13, 0x3f1, v11
	v_or_b32_e32 v9, 0x1000, v7
	v_med3_i32 v13, v13, 0, 13
	v_lshrrev_b32_e32 v18, v13, v9
	v_lshlrev_b32_e32 v13, v13, v18
	v_cmp_ne_u32_e32 vcc, v13, v9
	v_cndmask_b32_e64 v9, 0, 1, vcc
	v_add_u32_e32 v11, 0xfffffc10, v11
	v_or_b32_e32 v9, v18, v9
	v_lshl_or_b32 v13, v11, 12, v7
	v_cmp_gt_i32_e32 vcc, 1, v11
	v_cndmask_b32_e32 v9, v13, v9, vcc
	v_and_b32_e32 v13, 7, v9
	v_cmp_lt_i32_e32 vcc, 5, v13
	v_cmp_eq_u32_e64 s[0:1], 3, v13
	v_lshrrev_b32_e32 v13, 16, v8
	v_mul_f16_sdwa v18, v123, v13 dst_sel:DWORD dst_unused:UNUSED_PAD src0_sel:WORD_1 src1_sel:DWORD
	v_fma_f16 v18, v123, v8, v18
	v_cvt_f32_f16_e32 v18, v18
	v_lshrrev_b32_e32 v9, 2, v9
	s_or_b64 vcc, s[0:1], vcc
	v_addc_co_u32_e32 v9, vcc, 0, v9, vcc
	v_cvt_f64_f32_e32 v[18:19], v18
	v_cmp_gt_i32_e32 vcc, 31, v11
	v_cndmask_b32_e32 v9, v15, v9, vcc
	v_cmp_ne_u32_e32 vcc, 0, v7
	v_mul_f64 v[18:19], v[18:19], s[2:3]
	v_cndmask_b32_e64 v7, 0, 1, vcc
	v_lshl_or_b32 v7, v7, 9, v15
	v_cmp_eq_u32_e32 vcc, s10, v11
	v_cndmask_b32_e32 v7, v9, v7, vcc
	v_lshrrev_b32_e32 v9, 16, v21
	v_and_or_b32 v7, v9, s11, v7
	v_and_b32_e32 v5, 0xffff, v5
	v_lshl_or_b32 v5, v7, 16, v5
	v_mov_b32_e32 v7, s4
	v_add_co_u32_e32 v16, vcc, s5, v16
	v_addc_co_u32_e32 v17, vcc, v17, v7, vcc
	global_store_dword v[16:17], v5, off
	v_and_or_b32 v5, v19, s6, v18
	v_cmp_ne_u32_e32 vcc, 0, v5
	v_cndmask_b32_e64 v5, 0, 1, vcc
	v_lshrrev_b32_e32 v7, 8, v19
	v_bfe_u32 v9, v19, 20, 11
	v_and_or_b32 v5, v7, s7, v5
	v_sub_u32_e32 v11, 0x3f1, v9
	v_or_b32_e32 v7, 0x1000, v5
	v_med3_i32 v11, v11, 0, 13
	v_lshrrev_b32_e32 v18, v11, v7
	v_lshlrev_b32_e32 v11, v11, v18
	v_mul_f16_sdwa v8, v123, v8 dst_sel:DWORD dst_unused:UNUSED_PAD src0_sel:WORD_1 src1_sel:DWORD
	v_cmp_ne_u32_e32 vcc, v11, v7
	v_fma_f16 v8, v123, v13, -v8
	v_cndmask_b32_e64 v7, 0, 1, vcc
	v_add_u32_e32 v11, 0xfffffc10, v9
	v_cvt_f32_f16_e32 v8, v8
	v_or_b32_e32 v7, v18, v7
	v_lshl_or_b32 v9, v11, 12, v5
	v_cmp_gt_i32_e32 vcc, 1, v11
	v_cndmask_b32_e32 v7, v9, v7, vcc
	v_and_b32_e32 v9, 7, v7
	v_cmp_lt_i32_e32 vcc, 5, v9
	v_cmp_eq_u32_e64 s[0:1], 3, v9
	v_lshrrev_b32_e32 v9, 2, v7
	v_cvt_f64_f32_e32 v[7:8], v8
	s_or_b64 vcc, s[0:1], vcc
	v_addc_co_u32_e32 v9, vcc, 0, v9, vcc
	v_cmp_gt_i32_e32 vcc, 31, v11
	v_cndmask_b32_e32 v13, v15, v9, vcc
	v_mul_f64 v[8:9], v[7:8], s[2:3]
	v_cmp_ne_u32_e32 vcc, 0, v5
	v_cndmask_b32_e64 v5, 0, 1, vcc
	v_lshl_or_b32 v5, v5, 9, v15
	v_cmp_eq_u32_e32 vcc, s10, v11
	v_cndmask_b32_e32 v5, v13, v5, vcc
	v_lshrrev_b32_e32 v7, 16, v19
	v_and_or_b32 v5, v7, s11, v5
	v_and_or_b32 v7, v9, s6, v8
	v_cmp_ne_u32_e32 vcc, 0, v7
	v_cndmask_b32_e64 v7, 0, 1, vcc
	v_lshrrev_b32_e32 v8, 8, v9
	v_and_or_b32 v11, v8, s7, v7
	v_bfe_u32 v8, v9, 20, 11
	v_sub_u32_e32 v13, 0x3f1, v8
	v_or_b32_e32 v7, 0x1000, v11
	v_med3_i32 v13, v13, 0, 13
	v_lshrrev_b32_e32 v18, v13, v7
	v_lshlrev_b32_e32 v13, v13, v18
	v_cmp_ne_u32_e32 vcc, v13, v7
	v_cndmask_b32_e64 v7, 0, 1, vcc
	v_add_u32_e32 v13, 0xfffffc10, v8
	v_or_b32_e32 v7, v18, v7
	v_lshl_or_b32 v8, v13, 12, v11
	v_cmp_gt_i32_e32 vcc, 1, v13
	v_cndmask_b32_e32 v7, v8, v7, vcc
	v_and_b32_e32 v8, 7, v7
	v_cmp_lt_i32_e32 vcc, 5, v8
	v_cmp_eq_u32_e64 s[0:1], 3, v8
	v_lshrrev_b32_e32 v7, 2, v7
	s_or_b64 vcc, s[0:1], vcc
	v_addc_co_u32_e32 v18, vcc, 0, v7, vcc
	ds_read2_b32 v[7:8], v130 offset0:42 offset1:123
	v_cmp_gt_i32_e32 vcc, 31, v13
	v_cndmask_b32_e32 v18, v15, v18, vcc
	v_cmp_ne_u32_e32 vcc, 0, v11
	v_cndmask_b32_e64 v11, 0, 1, vcc
	s_waitcnt lgkmcnt(0)
	v_lshrrev_b32_e32 v20, 16, v7
	v_mul_f16_sdwa v19, v125, v20 dst_sel:DWORD dst_unused:UNUSED_PAD src0_sel:WORD_1 src1_sel:DWORD
	v_fma_f16 v19, v125, v7, v19
	v_cvt_f32_f16_e32 v19, v19
	v_lshl_or_b32 v11, v11, 9, v15
	v_cmp_eq_u32_e32 vcc, s10, v13
	v_cndmask_b32_e32 v11, v18, v11, vcc
	v_cvt_f64_f32_e32 v[18:19], v19
	v_lshrrev_b32_e32 v9, 16, v9
	v_and_or_b32 v9, v9, s11, v11
	v_and_b32_e32 v5, 0xffff, v5
	v_mul_f64 v[18:19], v[18:19], s[2:3]
	v_lshl_or_b32 v5, v9, 16, v5
	v_mov_b32_e32 v9, s4
	v_add_co_u32_e32 v16, vcc, s5, v16
	v_addc_co_u32_e32 v17, vcc, v17, v9, vcc
	global_store_dword v[16:17], v5, off
	v_and_or_b32 v5, v19, s6, v18
	v_cmp_ne_u32_e32 vcc, 0, v5
	v_cndmask_b32_e64 v5, 0, 1, vcc
	v_lshrrev_b32_e32 v9, 8, v19
	v_bfe_u32 v11, v19, 20, 11
	v_mul_f16_sdwa v7, v125, v7 dst_sel:DWORD dst_unused:UNUSED_PAD src0_sel:WORD_1 src1_sel:DWORD
	v_and_or_b32 v5, v9, s7, v5
	v_sub_u32_e32 v13, 0x3f1, v11
	v_fma_f16 v7, v125, v20, -v7
	v_or_b32_e32 v9, 0x1000, v5
	v_med3_i32 v13, v13, 0, 13
	v_cvt_f32_f16_e32 v7, v7
	v_lshrrev_b32_e32 v18, v13, v9
	v_lshlrev_b32_e32 v13, v13, v18
	v_cmp_ne_u32_e32 vcc, v13, v9
	v_cndmask_b32_e64 v9, 0, 1, vcc
	v_add_u32_e32 v11, 0xfffffc10, v11
	v_cvt_f64_f32_e32 v[20:21], v7
	v_or_b32_e32 v9, v18, v9
	v_lshl_or_b32 v13, v11, 12, v5
	v_cmp_gt_i32_e32 vcc, 1, v11
	v_cndmask_b32_e32 v9, v13, v9, vcc
	v_and_b32_e32 v13, 7, v9
	v_cmp_lt_i32_e32 vcc, 5, v13
	v_cmp_eq_u32_e64 s[0:1], 3, v13
	v_mul_f64 v[20:21], v[20:21], s[2:3]
	v_lshrrev_b32_e32 v9, 2, v9
	s_or_b64 vcc, s[0:1], vcc
	v_addc_co_u32_e32 v7, vcc, 0, v9, vcc
	v_cmp_gt_i32_e32 vcc, 31, v11
	v_cndmask_b32_e32 v7, v15, v7, vcc
	v_cmp_ne_u32_e32 vcc, 0, v5
	v_cndmask_b32_e64 v5, 0, 1, vcc
	v_lshl_or_b32 v5, v5, 9, v15
	v_cmp_eq_u32_e32 vcc, s10, v11
	v_cndmask_b32_e32 v5, v7, v5, vcc
	v_lshrrev_b32_e32 v7, 16, v19
	v_and_or_b32 v5, v7, s11, v5
	v_and_or_b32 v7, v21, s6, v20
	v_cmp_ne_u32_e32 vcc, 0, v7
	v_cndmask_b32_e64 v7, 0, 1, vcc
	v_lshrrev_b32_e32 v9, 8, v21
	v_bfe_u32 v11, v21, 20, 11
	v_and_or_b32 v7, v9, s7, v7
	v_sub_u32_e32 v13, 0x3f1, v11
	v_or_b32_e32 v9, 0x1000, v7
	v_med3_i32 v13, v13, 0, 13
	v_lshrrev_b32_e32 v18, v13, v9
	v_lshlrev_b32_e32 v13, v13, v18
	v_cmp_ne_u32_e32 vcc, v13, v9
	v_cndmask_b32_e64 v9, 0, 1, vcc
	v_add_u32_e32 v11, 0xfffffc10, v11
	v_or_b32_e32 v9, v18, v9
	v_lshl_or_b32 v13, v11, 12, v7
	v_cmp_gt_i32_e32 vcc, 1, v11
	v_cndmask_b32_e32 v9, v13, v9, vcc
	v_and_b32_e32 v13, 7, v9
	v_cmp_lt_i32_e32 vcc, 5, v13
	v_cmp_eq_u32_e64 s[0:1], 3, v13
	v_lshrrev_b32_e32 v13, 16, v10
	v_mul_f16_sdwa v18, v124, v13 dst_sel:DWORD dst_unused:UNUSED_PAD src0_sel:WORD_1 src1_sel:DWORD
	v_fma_f16 v18, v124, v10, v18
	v_cvt_f32_f16_e32 v18, v18
	v_lshrrev_b32_e32 v9, 2, v9
	s_or_b64 vcc, s[0:1], vcc
	v_addc_co_u32_e32 v9, vcc, 0, v9, vcc
	v_cvt_f64_f32_e32 v[18:19], v18
	v_cmp_gt_i32_e32 vcc, 31, v11
	v_cndmask_b32_e32 v9, v15, v9, vcc
	v_cmp_ne_u32_e32 vcc, 0, v7
	v_mul_f64 v[18:19], v[18:19], s[2:3]
	v_cndmask_b32_e64 v7, 0, 1, vcc
	v_lshl_or_b32 v7, v7, 9, v15
	v_cmp_eq_u32_e32 vcc, s10, v11
	v_cndmask_b32_e32 v7, v9, v7, vcc
	v_lshrrev_b32_e32 v9, 16, v21
	v_and_or_b32 v7, v9, s11, v7
	v_and_b32_e32 v5, 0xffff, v5
	v_lshl_or_b32 v5, v7, 16, v5
	v_mov_b32_e32 v7, s4
	v_add_co_u32_e32 v16, vcc, s5, v16
	v_addc_co_u32_e32 v17, vcc, v17, v7, vcc
	global_store_dword v[16:17], v5, off
	v_and_or_b32 v5, v19, s6, v18
	v_cmp_ne_u32_e32 vcc, 0, v5
	v_cndmask_b32_e64 v5, 0, 1, vcc
	v_lshrrev_b32_e32 v7, 8, v19
	v_bfe_u32 v9, v19, 20, 11
	v_and_or_b32 v5, v7, s7, v5
	v_sub_u32_e32 v11, 0x3f1, v9
	v_or_b32_e32 v7, 0x1000, v5
	v_med3_i32 v11, v11, 0, 13
	v_lshrrev_b32_e32 v18, v11, v7
	v_lshlrev_b32_e32 v11, v11, v18
	v_cmp_ne_u32_e32 vcc, v11, v7
	v_mul_f16_sdwa v10, v124, v10 dst_sel:DWORD dst_unused:UNUSED_PAD src0_sel:WORD_1 src1_sel:DWORD
	v_cndmask_b32_e64 v7, 0, 1, vcc
	v_fma_f16 v10, v124, v13, -v10
	v_or_b32_e32 v7, v18, v7
	v_add_u32_e32 v18, 0xfffffc10, v9
	v_cvt_f32_f16_e32 v10, v10
	v_lshl_or_b32 v9, v18, 12, v5
	v_cmp_gt_i32_e32 vcc, 1, v18
	v_cndmask_b32_e32 v7, v9, v7, vcc
	v_and_b32_e32 v9, 7, v7
	v_cmp_lt_i32_e32 vcc, 5, v9
	v_cmp_eq_u32_e64 s[0:1], 3, v9
	v_cvt_f64_f32_e32 v[9:10], v10
	v_lshrrev_b32_e32 v7, 2, v7
	s_or_b64 vcc, s[0:1], vcc
	v_addc_co_u32_e32 v7, vcc, 0, v7, vcc
	v_mul_f64 v[10:11], v[9:10], s[2:3]
	v_cmp_gt_i32_e32 vcc, 31, v18
	v_cndmask_b32_e32 v7, v15, v7, vcc
	v_cmp_ne_u32_e32 vcc, 0, v5
	v_cndmask_b32_e64 v5, 0, 1, vcc
	v_lshl_or_b32 v5, v5, 9, v15
	v_cmp_eq_u32_e32 vcc, s10, v18
	v_cndmask_b32_e32 v5, v7, v5, vcc
	v_lshrrev_b32_e32 v7, 16, v19
	v_and_or_b32 v5, v7, s11, v5
	v_and_or_b32 v7, v11, s6, v10
	v_cmp_ne_u32_e32 vcc, 0, v7
	v_cndmask_b32_e64 v7, 0, 1, vcc
	v_lshrrev_b32_e32 v9, 8, v11
	v_bfe_u32 v10, v11, 20, 11
	v_and_or_b32 v7, v9, s7, v7
	v_sub_u32_e32 v13, 0x3f1, v10
	v_or_b32_e32 v9, 0x1000, v7
	v_med3_i32 v13, v13, 0, 13
	v_lshrrev_b32_e32 v18, v13, v9
	v_lshlrev_b32_e32 v13, v13, v18
	v_cmp_ne_u32_e32 vcc, v13, v9
	v_cndmask_b32_e64 v9, 0, 1, vcc
	v_add_u32_e32 v13, 0xfffffc10, v10
	v_or_b32_e32 v9, v18, v9
	v_lshl_or_b32 v10, v13, 12, v7
	v_cmp_gt_i32_e32 vcc, 1, v13
	v_cndmask_b32_e32 v9, v10, v9, vcc
	v_and_b32_e32 v10, 7, v9
	v_cmp_lt_i32_e32 vcc, 5, v10
	v_cmp_eq_u32_e64 s[0:1], 3, v10
	v_lshrrev_b32_e32 v9, 2, v9
	s_or_b64 vcc, s[0:1], vcc
	v_addc_co_u32_e32 v18, vcc, 0, v9, vcc
	ds_read2_b32 v[9:10], v129 offset0:16 offset1:97
	v_cmp_gt_i32_e32 vcc, 31, v13
	v_cndmask_b32_e32 v18, v15, v18, vcc
	v_cmp_ne_u32_e32 vcc, 0, v7
	v_cndmask_b32_e64 v7, 0, 1, vcc
	s_waitcnt lgkmcnt(0)
	v_lshrrev_b32_e32 v20, 16, v9
	v_mul_f16_sdwa v19, v122, v20 dst_sel:DWORD dst_unused:UNUSED_PAD src0_sel:WORD_1 src1_sel:DWORD
	v_fma_f16 v19, v122, v9, v19
	v_cvt_f32_f16_e32 v19, v19
	v_lshl_or_b32 v7, v7, 9, v15
	v_cmp_eq_u32_e32 vcc, s10, v13
	v_cndmask_b32_e32 v7, v18, v7, vcc
	v_cvt_f64_f32_e32 v[18:19], v19
	v_lshrrev_b32_e32 v11, 16, v11
	v_and_or_b32 v7, v11, s11, v7
	v_and_b32_e32 v5, 0xffff, v5
	v_mul_f64 v[18:19], v[18:19], s[2:3]
	v_lshl_or_b32 v5, v7, 16, v5
	v_mov_b32_e32 v7, s4
	v_add_co_u32_e32 v16, vcc, s5, v16
	v_addc_co_u32_e32 v17, vcc, v17, v7, vcc
	global_store_dword v[16:17], v5, off
	v_and_or_b32 v5, v19, s6, v18
	v_cmp_ne_u32_e32 vcc, 0, v5
	v_cndmask_b32_e64 v5, 0, 1, vcc
	v_lshrrev_b32_e32 v7, 8, v19
	v_bfe_u32 v11, v19, 20, 11
	v_mul_f16_sdwa v9, v122, v9 dst_sel:DWORD dst_unused:UNUSED_PAD src0_sel:WORD_1 src1_sel:DWORD
	v_and_or_b32 v5, v7, s7, v5
	v_sub_u32_e32 v13, 0x3f1, v11
	v_fma_f16 v9, v122, v20, -v9
	v_or_b32_e32 v7, 0x1000, v5
	v_med3_i32 v13, v13, 0, 13
	v_cvt_f32_f16_e32 v9, v9
	v_lshrrev_b32_e32 v18, v13, v7
	v_lshlrev_b32_e32 v13, v13, v18
	v_cmp_ne_u32_e32 vcc, v13, v7
	v_cndmask_b32_e64 v7, 0, 1, vcc
	v_add_u32_e32 v11, 0xfffffc10, v11
	v_cvt_f64_f32_e32 v[20:21], v9
	v_or_b32_e32 v7, v18, v7
	v_lshl_or_b32 v13, v11, 12, v5
	v_cmp_gt_i32_e32 vcc, 1, v11
	v_cndmask_b32_e32 v7, v13, v7, vcc
	v_and_b32_e32 v13, 7, v7
	v_cmp_lt_i32_e32 vcc, 5, v13
	v_cmp_eq_u32_e64 s[0:1], 3, v13
	v_mul_f64 v[20:21], v[20:21], s[2:3]
	v_lshrrev_b32_e32 v7, 2, v7
	s_or_b64 vcc, s[0:1], vcc
	v_addc_co_u32_e32 v7, vcc, 0, v7, vcc
	v_cmp_gt_i32_e32 vcc, 31, v11
	v_cndmask_b32_e32 v7, v15, v7, vcc
	v_cmp_ne_u32_e32 vcc, 0, v5
	v_cndmask_b32_e64 v5, 0, 1, vcc
	v_lshl_or_b32 v5, v5, 9, v15
	v_cmp_eq_u32_e32 vcc, s10, v11
	v_cndmask_b32_e32 v5, v7, v5, vcc
	v_lshrrev_b32_e32 v7, 16, v19
	v_and_or_b32 v5, v7, s11, v5
	v_and_or_b32 v7, v21, s6, v20
	v_cmp_ne_u32_e32 vcc, 0, v7
	v_cndmask_b32_e64 v7, 0, 1, vcc
	v_lshrrev_b32_e32 v9, 8, v21
	v_bfe_u32 v11, v21, 20, 11
	v_and_or_b32 v7, v9, s7, v7
	v_sub_u32_e32 v13, 0x3f1, v11
	v_or_b32_e32 v9, 0x1000, v7
	v_med3_i32 v13, v13, 0, 13
	v_lshrrev_b32_e32 v18, v13, v9
	v_lshlrev_b32_e32 v13, v13, v18
	v_cmp_ne_u32_e32 vcc, v13, v9
	v_cndmask_b32_e64 v9, 0, 1, vcc
	v_add_u32_e32 v11, 0xfffffc10, v11
	v_or_b32_e32 v9, v18, v9
	v_lshl_or_b32 v13, v11, 12, v7
	v_cmp_gt_i32_e32 vcc, 1, v11
	v_cndmask_b32_e32 v9, v13, v9, vcc
	v_and_b32_e32 v13, 7, v9
	v_cmp_lt_i32_e32 vcc, 5, v13
	v_cmp_eq_u32_e64 s[0:1], 3, v13
	v_lshrrev_b32_e32 v13, 16, v12
	v_mul_f16_sdwa v18, v120, v13 dst_sel:DWORD dst_unused:UNUSED_PAD src0_sel:WORD_1 src1_sel:DWORD
	v_fma_f16 v18, v120, v12, v18
	v_cvt_f32_f16_e32 v18, v18
	v_lshrrev_b32_e32 v9, 2, v9
	s_or_b64 vcc, s[0:1], vcc
	v_addc_co_u32_e32 v9, vcc, 0, v9, vcc
	v_cvt_f64_f32_e32 v[18:19], v18
	v_cmp_gt_i32_e32 vcc, 31, v11
	v_cndmask_b32_e32 v9, v15, v9, vcc
	v_cmp_ne_u32_e32 vcc, 0, v7
	v_mul_f64 v[18:19], v[18:19], s[2:3]
	v_cndmask_b32_e64 v7, 0, 1, vcc
	v_lshl_or_b32 v7, v7, 9, v15
	v_cmp_eq_u32_e32 vcc, s10, v11
	v_cndmask_b32_e32 v7, v9, v7, vcc
	v_lshrrev_b32_e32 v9, 16, v21
	v_and_or_b32 v7, v9, s11, v7
	v_and_b32_e32 v5, 0xffff, v5
	v_lshl_or_b32 v5, v7, 16, v5
	v_mov_b32_e32 v7, s4
	v_add_co_u32_e32 v16, vcc, s5, v16
	v_addc_co_u32_e32 v17, vcc, v17, v7, vcc
	global_store_dword v[16:17], v5, off
	v_and_or_b32 v5, v19, s6, v18
	v_cmp_ne_u32_e32 vcc, 0, v5
	v_cndmask_b32_e64 v5, 0, 1, vcc
	v_lshrrev_b32_e32 v7, 8, v19
	v_bfe_u32 v9, v19, 20, 11
	v_and_or_b32 v5, v7, s7, v5
	v_sub_u32_e32 v11, 0x3f1, v9
	v_or_b32_e32 v7, 0x1000, v5
	v_med3_i32 v11, v11, 0, 13
	v_lshrrev_b32_e32 v18, v11, v7
	v_lshlrev_b32_e32 v11, v11, v18
	v_mul_f16_sdwa v12, v120, v12 dst_sel:DWORD dst_unused:UNUSED_PAD src0_sel:WORD_1 src1_sel:DWORD
	v_cmp_ne_u32_e32 vcc, v11, v7
	v_fma_f16 v12, v120, v13, -v12
	v_cndmask_b32_e64 v7, 0, 1, vcc
	v_add_u32_e32 v9, 0xfffffc10, v9
	v_cvt_f32_f16_e32 v12, v12
	v_or_b32_e32 v7, v18, v7
	v_lshl_or_b32 v11, v9, 12, v5
	v_cmp_gt_i32_e32 vcc, 1, v9
	v_cndmask_b32_e32 v7, v11, v7, vcc
	v_and_b32_e32 v11, 7, v7
	v_cmp_lt_i32_e32 vcc, 5, v11
	v_cmp_eq_u32_e64 s[0:1], 3, v11
	v_cvt_f64_f32_e32 v[11:12], v12
	v_lshrrev_b32_e32 v7, 2, v7
	s_or_b64 vcc, s[0:1], vcc
	v_addc_co_u32_e32 v7, vcc, 0, v7, vcc
	v_mul_f64 v[12:13], v[11:12], s[2:3]
	v_cmp_gt_i32_e32 vcc, 31, v9
	v_cndmask_b32_e32 v7, v15, v7, vcc
	v_cmp_ne_u32_e32 vcc, 0, v5
	v_cndmask_b32_e64 v5, 0, 1, vcc
	v_lshl_or_b32 v5, v5, 9, v15
	v_cmp_eq_u32_e32 vcc, s10, v9
	v_cndmask_b32_e32 v5, v7, v5, vcc
	v_lshrrev_b32_e32 v7, 16, v19
	v_and_or_b32 v5, v7, s11, v5
	v_and_or_b32 v7, v13, s6, v12
	v_cmp_ne_u32_e32 vcc, 0, v7
	v_cndmask_b32_e64 v7, 0, 1, vcc
	v_lshrrev_b32_e32 v9, 8, v13
	v_bfe_u32 v11, v13, 20, 11
	v_and_or_b32 v7, v9, s7, v7
	v_sub_u32_e32 v12, 0x3f1, v11
	v_or_b32_e32 v9, 0x1000, v7
	v_med3_i32 v12, v12, 0, 13
	v_lshrrev_b32_e32 v18, v12, v9
	v_lshlrev_b32_e32 v12, v12, v18
	v_cmp_ne_u32_e32 vcc, v12, v9
	v_cndmask_b32_e64 v9, 0, 1, vcc
	v_or_b32_e32 v9, v18, v9
	v_add_u32_e32 v18, 0xfffffc10, v11
	v_lshl_or_b32 v11, v18, 12, v7
	v_cmp_gt_i32_e32 vcc, 1, v18
	v_cndmask_b32_e32 v9, v11, v9, vcc
	v_and_b32_e32 v11, 7, v9
	v_cmp_lt_i32_e32 vcc, 5, v11
	v_cmp_eq_u32_e64 s[0:1], 3, v11
	ds_read2_b32 v[11:12], v126 offset0:118 offset1:199
	v_lshrrev_b32_e32 v9, 2, v9
	s_or_b64 vcc, s[0:1], vcc
	v_addc_co_u32_e32 v9, vcc, 0, v9, vcc
	s_waitcnt lgkmcnt(0)
	v_lshrrev_b32_e32 v20, 16, v11
	v_mul_f16_sdwa v19, v119, v20 dst_sel:DWORD dst_unused:UNUSED_PAD src0_sel:WORD_1 src1_sel:DWORD
	v_fma_f16 v19, v119, v11, v19
	v_cvt_f32_f16_e32 v19, v19
	v_cmp_gt_i32_e32 vcc, 31, v18
	v_cndmask_b32_e32 v9, v15, v9, vcc
	v_cmp_ne_u32_e32 vcc, 0, v7
	v_cndmask_b32_e64 v7, 0, 1, vcc
	v_cmp_eq_u32_e32 vcc, s10, v18
	v_cvt_f64_f32_e32 v[18:19], v19
	v_lshl_or_b32 v7, v7, 9, v15
	v_cndmask_b32_e32 v7, v9, v7, vcc
	v_lshrrev_b32_e32 v9, 16, v13
	v_mul_f64 v[18:19], v[18:19], s[2:3]
	v_and_or_b32 v7, v9, s11, v7
	v_and_b32_e32 v5, 0xffff, v5
	v_lshl_or_b32 v5, v7, 16, v5
	v_mov_b32_e32 v7, s4
	v_add_co_u32_e32 v16, vcc, s5, v16
	v_addc_co_u32_e32 v17, vcc, v17, v7, vcc
	global_store_dword v[16:17], v5, off
	v_and_or_b32 v5, v19, s6, v18
	v_cmp_ne_u32_e32 vcc, 0, v5
	v_cndmask_b32_e64 v5, 0, 1, vcc
	v_lshrrev_b32_e32 v7, 8, v19
	v_bfe_u32 v9, v19, 20, 11
	v_mul_f16_sdwa v11, v119, v11 dst_sel:DWORD dst_unused:UNUSED_PAD src0_sel:WORD_1 src1_sel:DWORD
	v_and_or_b32 v5, v7, s7, v5
	v_sub_u32_e32 v13, 0x3f1, v9
	v_fma_f16 v11, v119, v20, -v11
	v_or_b32_e32 v7, 0x1000, v5
	v_med3_i32 v13, v13, 0, 13
	v_cvt_f32_f16_e32 v11, v11
	v_lshrrev_b32_e32 v18, v13, v7
	v_lshlrev_b32_e32 v13, v13, v18
	v_cmp_ne_u32_e32 vcc, v13, v7
	v_cndmask_b32_e64 v7, 0, 1, vcc
	v_add_u32_e32 v9, 0xfffffc10, v9
	v_cvt_f64_f32_e32 v[20:21], v11
	v_or_b32_e32 v7, v18, v7
	v_lshl_or_b32 v13, v9, 12, v5
	v_cmp_gt_i32_e32 vcc, 1, v9
	v_cndmask_b32_e32 v7, v13, v7, vcc
	v_and_b32_e32 v13, 7, v7
	v_cmp_lt_i32_e32 vcc, 5, v13
	v_cmp_eq_u32_e64 s[0:1], 3, v13
	v_mul_f64 v[20:21], v[20:21], s[2:3]
	v_lshrrev_b32_e32 v7, 2, v7
	s_or_b64 vcc, s[0:1], vcc
	v_addc_co_u32_e32 v7, vcc, 0, v7, vcc
	v_cmp_gt_i32_e32 vcc, 31, v9
	v_cndmask_b32_e32 v7, v15, v7, vcc
	v_cmp_ne_u32_e32 vcc, 0, v5
	v_cndmask_b32_e64 v5, 0, 1, vcc
	v_lshl_or_b32 v5, v5, 9, v15
	v_cmp_eq_u32_e32 vcc, s10, v9
	v_cndmask_b32_e32 v5, v7, v5, vcc
	v_lshrrev_b32_e32 v7, 16, v19
	v_and_or_b32 v5, v7, s11, v5
	v_and_or_b32 v7, v21, s6, v20
	v_cmp_ne_u32_e32 vcc, 0, v7
	v_cndmask_b32_e64 v7, 0, 1, vcc
	v_lshrrev_b32_e32 v9, 8, v21
	v_bfe_u32 v11, v21, 20, 11
	v_and_or_b32 v7, v9, s7, v7
	v_sub_u32_e32 v13, 0x3f1, v11
	v_or_b32_e32 v9, 0x1000, v7
	v_med3_i32 v13, v13, 0, 13
	v_lshrrev_b32_e32 v18, v13, v9
	v_lshlrev_b32_e32 v13, v13, v18
	v_cmp_ne_u32_e32 vcc, v13, v9
	v_cndmask_b32_e64 v9, 0, 1, vcc
	v_add_u32_e32 v11, 0xfffffc10, v11
	v_or_b32_e32 v9, v18, v9
	v_lshl_or_b32 v13, v11, 12, v7
	v_cmp_gt_i32_e32 vcc, 1, v11
	v_cndmask_b32_e32 v9, v13, v9, vcc
	v_and_b32_e32 v13, 7, v9
	v_cmp_lt_i32_e32 vcc, 5, v13
	v_cmp_eq_u32_e64 s[0:1], 3, v13
	v_lshrrev_b32_e32 v13, 16, v14
	v_mul_f16_sdwa v18, v118, v13 dst_sel:DWORD dst_unused:UNUSED_PAD src0_sel:WORD_1 src1_sel:DWORD
	v_fma_f16 v18, v118, v14, v18
	v_cvt_f32_f16_e32 v18, v18
	v_lshrrev_b32_e32 v9, 2, v9
	s_or_b64 vcc, s[0:1], vcc
	v_addc_co_u32_e32 v9, vcc, 0, v9, vcc
	v_cvt_f64_f32_e32 v[18:19], v18
	v_cmp_gt_i32_e32 vcc, 31, v11
	v_cndmask_b32_e32 v9, v15, v9, vcc
	v_cmp_ne_u32_e32 vcc, 0, v7
	v_mul_f64 v[18:19], v[18:19], s[2:3]
	v_cndmask_b32_e64 v7, 0, 1, vcc
	v_lshl_or_b32 v7, v7, 9, v15
	v_cmp_eq_u32_e32 vcc, s10, v11
	v_cndmask_b32_e32 v7, v9, v7, vcc
	v_lshrrev_b32_e32 v9, 16, v21
	v_and_or_b32 v7, v9, s11, v7
	v_and_b32_e32 v5, 0xffff, v5
	v_lshl_or_b32 v5, v7, 16, v5
	v_mov_b32_e32 v7, s4
	v_add_co_u32_e32 v16, vcc, s5, v16
	v_addc_co_u32_e32 v17, vcc, v17, v7, vcc
	global_store_dword v[16:17], v5, off
	v_and_or_b32 v5, v19, s6, v18
	v_cmp_ne_u32_e32 vcc, 0, v5
	v_cndmask_b32_e64 v5, 0, 1, vcc
	v_lshrrev_b32_e32 v7, 8, v19
	v_bfe_u32 v9, v19, 20, 11
	v_mul_f16_sdwa v14, v118, v14 dst_sel:DWORD dst_unused:UNUSED_PAD src0_sel:WORD_1 src1_sel:DWORD
	v_and_or_b32 v5, v7, s7, v5
	v_sub_u32_e32 v11, 0x3f1, v9
	v_fma_f16 v13, v118, v13, -v14
	v_or_b32_e32 v7, 0x1000, v5
	v_med3_i32 v11, v11, 0, 13
	v_cvt_f32_f16_e32 v13, v13
	v_lshrrev_b32_e32 v18, v11, v7
	v_lshlrev_b32_e32 v11, v11, v18
	v_cmp_ne_u32_e32 vcc, v11, v7
	v_cndmask_b32_e64 v7, 0, 1, vcc
	v_add_u32_e32 v9, 0xfffffc10, v9
	v_cvt_f64_f32_e32 v[13:14], v13
	v_or_b32_e32 v7, v18, v7
	v_lshl_or_b32 v11, v9, 12, v5
	v_cmp_gt_i32_e32 vcc, 1, v9
	v_cndmask_b32_e32 v7, v11, v7, vcc
	v_and_b32_e32 v11, 7, v7
	v_cmp_lt_i32_e32 vcc, 5, v11
	v_cmp_eq_u32_e64 s[0:1], 3, v11
	v_mul_f64 v[20:21], v[13:14], s[2:3]
	v_lshrrev_b32_e32 v7, 2, v7
	s_or_b64 vcc, s[0:1], vcc
	v_addc_co_u32_e32 v7, vcc, 0, v7, vcc
	v_cmp_gt_i32_e32 vcc, 31, v9
	v_cndmask_b32_e32 v7, v15, v7, vcc
	v_cmp_ne_u32_e32 vcc, 0, v5
	v_cndmask_b32_e64 v5, 0, 1, vcc
	v_lshl_or_b32 v5, v5, 9, v15
	v_cmp_eq_u32_e32 vcc, s10, v9
	v_cndmask_b32_e32 v5, v7, v5, vcc
	v_lshrrev_b32_e32 v7, 16, v19
	v_and_or_b32 v5, v7, s11, v5
	v_and_or_b32 v7, v21, s6, v20
	v_cmp_ne_u32_e32 vcc, 0, v7
	v_cndmask_b32_e64 v7, 0, 1, vcc
	v_lshrrev_b32_e32 v9, 8, v21
	v_bfe_u32 v11, v21, 20, 11
	v_and_or_b32 v7, v9, s7, v7
	v_sub_u32_e32 v13, 0x3f1, v11
	v_or_b32_e32 v9, 0x1000, v7
	v_med3_i32 v13, v13, 0, 13
	v_lshrrev_b32_e32 v14, v13, v9
	v_lshlrev_b32_e32 v13, v13, v14
	v_cmp_ne_u32_e32 vcc, v13, v9
	v_cndmask_b32_e64 v9, 0, 1, vcc
	v_add_u32_e32 v11, 0xfffffc10, v11
	v_or_b32_e32 v9, v14, v9
	v_lshl_or_b32 v13, v11, 12, v7
	v_cmp_gt_i32_e32 vcc, 1, v11
	v_cndmask_b32_e32 v9, v13, v9, vcc
	v_and_b32_e32 v13, 7, v9
	v_cmp_lt_i32_e32 vcc, 5, v13
	v_cmp_eq_u32_e64 s[0:1], 3, v13
	ds_read2_b32 v[13:14], v121 offset0:92 offset1:173
	v_lshrrev_b32_e32 v9, 2, v9
	s_or_b64 vcc, s[0:1], vcc
	v_addc_co_u32_e32 v9, vcc, 0, v9, vcc
	s_waitcnt lgkmcnt(0)
	v_lshrrev_b32_e32 v20, 16, v13
	v_mul_f16_sdwa v18, v117, v20 dst_sel:DWORD dst_unused:UNUSED_PAD src0_sel:WORD_1 src1_sel:DWORD
	v_fma_f16 v18, v117, v13, v18
	v_cvt_f32_f16_e32 v18, v18
	v_cmp_gt_i32_e32 vcc, 31, v11
	v_cndmask_b32_e32 v9, v15, v9, vcc
	v_cmp_ne_u32_e32 vcc, 0, v7
	v_cvt_f64_f32_e32 v[18:19], v18
	v_cndmask_b32_e64 v7, 0, 1, vcc
	v_lshl_or_b32 v7, v7, 9, v15
	v_cmp_eq_u32_e32 vcc, s10, v11
	v_mul_f64 v[18:19], v[18:19], s[2:3]
	v_cndmask_b32_e32 v7, v9, v7, vcc
	v_lshrrev_b32_e32 v9, 16, v21
	v_and_or_b32 v7, v9, s11, v7
	v_and_b32_e32 v5, 0xffff, v5
	v_lshl_or_b32 v5, v7, 16, v5
	v_mov_b32_e32 v7, s4
	v_add_co_u32_e32 v16, vcc, s5, v16
	v_addc_co_u32_e32 v17, vcc, v17, v7, vcc
	global_store_dword v[16:17], v5, off
	v_and_or_b32 v5, v19, s6, v18
	v_cmp_ne_u32_e32 vcc, 0, v5
	v_cndmask_b32_e64 v5, 0, 1, vcc
	v_lshrrev_b32_e32 v7, 8, v19
	v_bfe_u32 v9, v19, 20, 11
	v_mul_f16_sdwa v13, v117, v13 dst_sel:DWORD dst_unused:UNUSED_PAD src0_sel:WORD_1 src1_sel:DWORD
	v_and_or_b32 v5, v7, s7, v5
	v_sub_u32_e32 v11, 0x3f1, v9
	v_fma_f16 v13, v117, v20, -v13
	v_or_b32_e32 v7, 0x1000, v5
	v_med3_i32 v11, v11, 0, 13
	v_cvt_f32_f16_e32 v13, v13
	v_lshrrev_b32_e32 v18, v11, v7
	v_lshlrev_b32_e32 v11, v11, v18
	v_cmp_ne_u32_e32 vcc, v11, v7
	v_cndmask_b32_e64 v7, 0, 1, vcc
	v_add_u32_e32 v9, 0xfffffc10, v9
	v_cvt_f64_f32_e32 v[20:21], v13
	v_or_b32_e32 v7, v18, v7
	v_lshl_or_b32 v11, v9, 12, v5
	v_cmp_gt_i32_e32 vcc, 1, v9
	v_cndmask_b32_e32 v7, v11, v7, vcc
	v_and_b32_e32 v11, 7, v7
	v_cmp_lt_i32_e32 vcc, 5, v11
	v_cmp_eq_u32_e64 s[0:1], 3, v11
	v_mul_f64 v[20:21], v[20:21], s[2:3]
	v_lshrrev_b32_e32 v7, 2, v7
	s_or_b64 vcc, s[0:1], vcc
	v_addc_co_u32_e32 v7, vcc, 0, v7, vcc
	v_cmp_gt_i32_e32 vcc, 31, v9
	v_cndmask_b32_e32 v7, v15, v7, vcc
	v_cmp_ne_u32_e32 vcc, 0, v5
	v_cndmask_b32_e64 v5, 0, 1, vcc
	v_lshl_or_b32 v5, v5, 9, v15
	v_cmp_eq_u32_e32 vcc, s10, v9
	v_cndmask_b32_e32 v5, v7, v5, vcc
	v_lshrrev_b32_e32 v7, 16, v19
	v_and_or_b32 v5, v7, s11, v5
	v_and_or_b32 v7, v21, s6, v20
	v_cmp_ne_u32_e32 vcc, 0, v7
	v_cndmask_b32_e64 v7, 0, 1, vcc
	v_lshrrev_b32_e32 v9, 8, v21
	v_bfe_u32 v11, v21, 20, 11
	v_and_or_b32 v7, v9, s7, v7
	v_sub_u32_e32 v13, 0x3f1, v11
	v_or_b32_e32 v9, 0x1000, v7
	v_med3_i32 v13, v13, 0, 13
	v_lshrrev_b32_e32 v18, v13, v9
	v_lshlrev_b32_e32 v13, v13, v18
	v_cmp_ne_u32_e32 vcc, v13, v9
	v_cndmask_b32_e64 v9, 0, 1, vcc
	v_add_u32_e32 v11, 0xfffffc10, v11
	v_or_b32_e32 v9, v18, v9
	v_lshl_or_b32 v13, v11, 12, v7
	v_cmp_gt_i32_e32 vcc, 1, v11
	v_cndmask_b32_e32 v9, v13, v9, vcc
	v_and_b32_e32 v13, 7, v9
	v_cmp_lt_i32_e32 vcc, 5, v13
	v_cmp_eq_u32_e64 s[0:1], 3, v13
	v_lshrrev_b32_e32 v13, 16, v0
	v_mul_f16_sdwa v18, v115, v13 dst_sel:DWORD dst_unused:UNUSED_PAD src0_sel:WORD_1 src1_sel:DWORD
	v_fma_f16 v18, v115, v0, v18
	v_cvt_f32_f16_e32 v18, v18
	v_lshrrev_b32_e32 v9, 2, v9
	s_or_b64 vcc, s[0:1], vcc
	v_addc_co_u32_e32 v9, vcc, 0, v9, vcc
	v_cvt_f64_f32_e32 v[18:19], v18
	v_cmp_gt_i32_e32 vcc, 31, v11
	v_cndmask_b32_e32 v9, v15, v9, vcc
	v_cmp_ne_u32_e32 vcc, 0, v7
	v_mul_f64 v[18:19], v[18:19], s[2:3]
	v_cndmask_b32_e64 v7, 0, 1, vcc
	v_lshl_or_b32 v7, v7, 9, v15
	v_cmp_eq_u32_e32 vcc, s10, v11
	v_cndmask_b32_e32 v7, v9, v7, vcc
	v_lshrrev_b32_e32 v9, 16, v21
	v_and_or_b32 v7, v9, s11, v7
	v_and_b32_e32 v5, 0xffff, v5
	v_lshl_or_b32 v5, v7, 16, v5
	v_mov_b32_e32 v7, s4
	v_add_co_u32_e32 v16, vcc, s5, v16
	v_addc_co_u32_e32 v17, vcc, v17, v7, vcc
	global_store_dword v[16:17], v5, off
	v_and_or_b32 v5, v19, s6, v18
	v_cmp_ne_u32_e32 vcc, 0, v5
	v_cndmask_b32_e64 v5, 0, 1, vcc
	v_lshrrev_b32_e32 v7, 8, v19
	v_bfe_u32 v9, v19, 20, 11
	v_mul_f16_sdwa v0, v115, v0 dst_sel:DWORD dst_unused:UNUSED_PAD src0_sel:WORD_1 src1_sel:DWORD
	v_and_or_b32 v5, v7, s7, v5
	v_sub_u32_e32 v11, 0x3f1, v9
	v_fma_f16 v0, v115, v13, -v0
	v_or_b32_e32 v7, 0x1000, v5
	v_med3_i32 v11, v11, 0, 13
	v_cvt_f32_f16_e32 v0, v0
	v_lshrrev_b32_e32 v18, v11, v7
	v_lshlrev_b32_e32 v11, v11, v18
	v_cmp_ne_u32_e32 vcc, v11, v7
	v_cndmask_b32_e64 v7, 0, 1, vcc
	v_add_u32_e32 v9, 0xfffffc10, v9
	v_cvt_f64_f32_e32 v[20:21], v0
	v_or_b32_e32 v7, v18, v7
	v_lshl_or_b32 v11, v9, 12, v5
	v_cmp_gt_i32_e32 vcc, 1, v9
	v_cndmask_b32_e32 v7, v11, v7, vcc
	v_and_b32_e32 v11, 7, v7
	v_cmp_lt_i32_e32 vcc, 5, v11
	v_cmp_eq_u32_e64 s[0:1], 3, v11
	v_mul_f64 v[20:21], v[20:21], s[2:3]
	v_lshrrev_b32_e32 v7, 2, v7
	s_or_b64 vcc, s[0:1], vcc
	v_addc_co_u32_e32 v0, vcc, 0, v7, vcc
	v_cmp_gt_i32_e32 vcc, 31, v9
	v_cndmask_b32_e32 v0, v15, v0, vcc
	v_cmp_ne_u32_e32 vcc, 0, v5
	v_cndmask_b32_e64 v5, 0, 1, vcc
	v_lshl_or_b32 v5, v5, 9, v15
	v_cmp_eq_u32_e32 vcc, s10, v9
	v_cndmask_b32_e32 v0, v0, v5, vcc
	v_lshrrev_b32_e32 v5, 16, v19
	v_and_or_b32 v0, v5, s11, v0
	v_and_or_b32 v5, v21, s6, v20
	v_cmp_ne_u32_e32 vcc, 0, v5
	v_cndmask_b32_e64 v5, 0, 1, vcc
	v_lshrrev_b32_e32 v7, 8, v21
	v_bfe_u32 v9, v21, 20, 11
	v_and_or_b32 v5, v7, s7, v5
	v_sub_u32_e32 v11, 0x3f1, v9
	v_or_b32_e32 v7, 0x1000, v5
	v_med3_i32 v11, v11, 0, 13
	v_lshrrev_b32_e32 v13, v11, v7
	v_lshlrev_b32_e32 v11, v11, v13
	v_cmp_ne_u32_e32 vcc, v11, v7
	v_cndmask_b32_e64 v7, 0, 1, vcc
	v_add_u32_e32 v9, 0xfffffc10, v9
	v_or_b32_e32 v7, v13, v7
	v_lshl_or_b32 v11, v9, 12, v5
	v_cmp_gt_i32_e32 vcc, 1, v9
	v_cndmask_b32_e32 v7, v11, v7, vcc
	v_and_b32_e32 v11, 7, v7
	v_cmp_lt_i32_e32 vcc, 5, v11
	v_cmp_eq_u32_e64 s[0:1], 3, v11
	v_lshrrev_b32_e32 v11, 16, v6
	v_mul_f16_sdwa v13, v114, v11 dst_sel:DWORD dst_unused:UNUSED_PAD src0_sel:WORD_1 src1_sel:DWORD
	v_fma_f16 v13, v114, v6, v13
	v_cvt_f32_f16_e32 v13, v13
	v_lshrrev_b32_e32 v7, 2, v7
	s_or_b64 vcc, s[0:1], vcc
	v_addc_co_u32_e32 v7, vcc, 0, v7, vcc
	v_cvt_f64_f32_e32 v[18:19], v13
	v_cmp_gt_i32_e32 vcc, 31, v9
	v_cndmask_b32_e32 v7, v15, v7, vcc
	v_cmp_ne_u32_e32 vcc, 0, v5
	v_mul_f64 v[18:19], v[18:19], s[2:3]
	v_cndmask_b32_e64 v5, 0, 1, vcc
	v_mad_u64_u32 v[16:17], s[0:1], s8, v116, v[16:17]
	v_lshl_or_b32 v5, v5, 9, v15
	v_cmp_eq_u32_e32 vcc, s10, v9
	v_cndmask_b32_e32 v5, v7, v5, vcc
	v_lshrrev_b32_e32 v7, 16, v21
	v_and_or_b32 v5, v7, s11, v5
	v_and_b32_e32 v0, 0xffff, v0
	v_lshl_or_b32 v0, v5, 16, v0
	v_add_u32_e32 v17, s9, v17
	global_store_dword v[16:17], v0, off
	v_and_or_b32 v0, v19, s6, v18
	v_cmp_ne_u32_e32 vcc, 0, v0
	v_cndmask_b32_e64 v0, 0, 1, vcc
	v_lshrrev_b32_e32 v5, 8, v19
	v_bfe_u32 v7, v19, 20, 11
	v_and_or_b32 v0, v5, s7, v0
	v_sub_u32_e32 v9, 0x3f1, v7
	v_or_b32_e32 v5, 0x1000, v0
	v_med3_i32 v9, v9, 0, 13
	v_lshrrev_b32_e32 v13, v9, v5
	v_lshlrev_b32_e32 v9, v9, v13
	v_mul_f16_sdwa v6, v114, v6 dst_sel:DWORD dst_unused:UNUSED_PAD src0_sel:WORD_1 src1_sel:DWORD
	v_cmp_ne_u32_e32 vcc, v9, v5
	v_fma_f16 v6, v114, v11, -v6
	v_cndmask_b32_e64 v5, 0, 1, vcc
	v_add_u32_e32 v7, 0xfffffc10, v7
	v_cvt_f32_f16_e32 v6, v6
	v_or_b32_e32 v5, v13, v5
	v_lshl_or_b32 v9, v7, 12, v0
	v_cmp_gt_i32_e32 vcc, 1, v7
	v_cndmask_b32_e32 v5, v9, v5, vcc
	v_and_b32_e32 v9, 7, v5
	v_cmp_lt_i32_e32 vcc, 5, v9
	v_cmp_eq_u32_e64 s[0:1], 3, v9
	v_lshrrev_b32_e32 v9, 2, v5
	v_cvt_f64_f32_e32 v[5:6], v6
	s_or_b64 vcc, s[0:1], vcc
	v_addc_co_u32_e32 v9, vcc, 0, v9, vcc
	v_mul_f64 v[5:6], v[5:6], s[2:3]
	v_cmp_gt_i32_e32 vcc, 31, v7
	v_cndmask_b32_e32 v9, v15, v9, vcc
	v_cmp_ne_u32_e32 vcc, 0, v0
	v_cndmask_b32_e64 v0, 0, 1, vcc
	v_lshl_or_b32 v0, v0, 9, v15
	v_cmp_eq_u32_e32 vcc, s10, v7
	v_cndmask_b32_e32 v0, v9, v0, vcc
	v_and_or_b32 v5, v6, s6, v5
	v_lshrrev_b32_e32 v7, 16, v19
	v_cmp_ne_u32_e32 vcc, 0, v5
	v_and_or_b32 v0, v7, s11, v0
	v_cndmask_b32_e64 v5, 0, 1, vcc
	v_lshrrev_b32_e32 v7, 8, v6
	v_bfe_u32 v9, v6, 20, 11
	v_and_or_b32 v5, v7, s7, v5
	v_sub_u32_e32 v11, 0x3f1, v9
	v_or_b32_e32 v7, 0x1000, v5
	v_med3_i32 v11, v11, 0, 13
	v_lshrrev_b32_e32 v13, v11, v7
	v_lshlrev_b32_e32 v11, v11, v13
	v_cmp_ne_u32_e32 vcc, v11, v7
	v_cndmask_b32_e64 v7, 0, 1, vcc
	v_add_u32_e32 v9, 0xfffffc10, v9
	v_or_b32_e32 v7, v13, v7
	v_lshl_or_b32 v11, v9, 12, v5
	v_cmp_gt_i32_e32 vcc, 1, v9
	v_cndmask_b32_e32 v7, v11, v7, vcc
	v_and_b32_e32 v11, 7, v7
	v_cmp_lt_i32_e32 vcc, 5, v11
	v_cmp_eq_u32_e64 s[0:1], 3, v11
	v_lshrrev_b32_e32 v11, 16, v1
	v_mul_f16_sdwa v13, v113, v11 dst_sel:DWORD dst_unused:UNUSED_PAD src0_sel:WORD_1 src1_sel:DWORD
	v_fma_f16 v13, v113, v1, v13
	v_cvt_f32_f16_e32 v13, v13
	v_lshrrev_b32_e32 v7, 2, v7
	s_or_b64 vcc, s[0:1], vcc
	v_addc_co_u32_e32 v7, vcc, 0, v7, vcc
	v_cmp_gt_i32_e32 vcc, 31, v9
	v_cndmask_b32_e32 v7, v15, v7, vcc
	v_cmp_ne_u32_e32 vcc, 0, v5
	v_cvt_f64_f32_e32 v[18:19], v13
	v_cndmask_b32_e64 v5, 0, 1, vcc
	v_lshl_or_b32 v5, v5, 9, v15
	v_cmp_eq_u32_e32 vcc, s10, v9
	v_cndmask_b32_e32 v5, v7, v5, vcc
	v_lshrrev_b32_e32 v6, 16, v6
	v_and_or_b32 v7, v6, s11, v5
	v_mul_f64 v[5:6], v[18:19], s[2:3]
	v_and_b32_e32 v0, 0xffff, v0
	v_lshl_or_b32 v0, v7, 16, v0
	v_mov_b32_e32 v7, s4
	v_add_co_u32_e32 v16, vcc, s5, v16
	v_addc_co_u32_e32 v17, vcc, v17, v7, vcc
	global_store_dword v[16:17], v0, off
	v_and_or_b32 v0, v6, s6, v5
	v_cmp_ne_u32_e32 vcc, 0, v0
	v_cndmask_b32_e64 v0, 0, 1, vcc
	v_lshrrev_b32_e32 v5, 8, v6
	v_bfe_u32 v7, v6, 20, 11
	v_and_or_b32 v5, v5, s7, v0
	v_sub_u32_e32 v9, 0x3f1, v7
	v_or_b32_e32 v0, 0x1000, v5
	v_med3_i32 v9, v9, 0, 13
	v_lshrrev_b32_e32 v13, v9, v0
	v_lshlrev_b32_e32 v9, v9, v13
	v_mul_f16_sdwa v1, v113, v1 dst_sel:DWORD dst_unused:UNUSED_PAD src0_sel:WORD_1 src1_sel:DWORD
	v_cmp_ne_u32_e32 vcc, v9, v0
	v_fma_f16 v1, v113, v11, -v1
	v_cndmask_b32_e64 v0, 0, 1, vcc
	v_add_u32_e32 v7, 0xfffffc10, v7
	v_cvt_f32_f16_e32 v1, v1
	v_or_b32_e32 v0, v13, v0
	v_lshl_or_b32 v9, v7, 12, v5
	v_cmp_gt_i32_e32 vcc, 1, v7
	v_cndmask_b32_e32 v0, v9, v0, vcc
	v_and_b32_e32 v9, 7, v0
	v_cmp_lt_i32_e32 vcc, 5, v9
	v_cmp_eq_u32_e64 s[0:1], 3, v9
	v_lshrrev_b32_e32 v9, 2, v0
	v_cvt_f64_f32_e32 v[0:1], v1
	s_or_b64 vcc, s[0:1], vcc
	v_addc_co_u32_e32 v9, vcc, 0, v9, vcc
	v_mul_f64 v[0:1], v[0:1], s[2:3]
	v_cmp_gt_i32_e32 vcc, 31, v7
	v_cndmask_b32_e32 v9, v15, v9, vcc
	v_cmp_ne_u32_e32 vcc, 0, v5
	v_cndmask_b32_e64 v5, 0, 1, vcc
	v_lshl_or_b32 v5, v5, 9, v15
	v_cmp_eq_u32_e32 vcc, s10, v7
	v_cndmask_b32_e32 v5, v9, v5, vcc
	v_and_or_b32 v0, v1, s6, v0
	v_lshrrev_b32_e32 v6, 16, v6
	v_cmp_ne_u32_e32 vcc, 0, v0
	v_and_or_b32 v7, v6, s11, v5
	v_cndmask_b32_e64 v0, 0, 1, vcc
	v_lshrrev_b32_e32 v5, 8, v1
	v_bfe_u32 v6, v1, 20, 11
	v_and_or_b32 v0, v5, s7, v0
	v_sub_u32_e32 v9, 0x3f1, v6
	v_or_b32_e32 v5, 0x1000, v0
	v_med3_i32 v9, v9, 0, 13
	v_lshrrev_b32_e32 v11, v9, v5
	v_lshlrev_b32_e32 v9, v9, v11
	v_cmp_ne_u32_e32 vcc, v9, v5
	v_cndmask_b32_e64 v5, 0, 1, vcc
	v_add_u32_e32 v6, 0xfffffc10, v6
	v_or_b32_e32 v5, v11, v5
	v_lshl_or_b32 v9, v6, 12, v0
	v_cmp_gt_i32_e32 vcc, 1, v6
	v_cndmask_b32_e32 v5, v9, v5, vcc
	v_and_b32_e32 v9, 7, v5
	v_cmp_lt_i32_e32 vcc, 5, v9
	v_cmp_eq_u32_e64 s[0:1], 3, v9
	v_lshrrev_b32_e32 v9, 16, v8
	v_lshrrev_b32_e32 v5, 2, v5
	s_or_b64 vcc, s[0:1], vcc
	v_mul_f16_sdwa v11, v112, v9 dst_sel:DWORD dst_unused:UNUSED_PAD src0_sel:WORD_1 src1_sel:DWORD
	v_addc_co_u32_e32 v5, vcc, 0, v5, vcc
	v_fma_f16 v11, v112, v8, v11
	v_cmp_gt_i32_e32 vcc, 31, v6
	v_cvt_f32_f16_e32 v11, v11
	v_cndmask_b32_e32 v5, v15, v5, vcc
	v_cmp_ne_u32_e32 vcc, 0, v0
	v_cndmask_b32_e64 v0, 0, 1, vcc
	v_lshl_or_b32 v0, v0, 9, v15
	v_cmp_eq_u32_e32 vcc, s10, v6
	v_cndmask_b32_e32 v0, v5, v0, vcc
	v_cvt_f64_f32_e32 v[5:6], v11
	v_lshrrev_b32_e32 v1, 16, v1
	v_and_or_b32 v11, v1, s11, v0
	v_and_b32_e32 v7, 0xffff, v7
	v_mul_f64 v[0:1], v[5:6], s[2:3]
	v_mov_b32_e32 v6, s4
	v_add_co_u32_e32 v5, vcc, s5, v16
	v_addc_co_u32_e32 v6, vcc, v17, v6, vcc
	v_lshl_or_b32 v7, v11, 16, v7
	global_store_dword v[5:6], v7, off
	v_and_or_b32 v0, v1, s6, v0
	v_cmp_ne_u32_e32 vcc, 0, v0
	v_cndmask_b32_e64 v0, 0, 1, vcc
	v_lshrrev_b32_e32 v7, 8, v1
	v_bfe_u32 v11, v1, 20, 11
	v_and_or_b32 v0, v7, s7, v0
	v_sub_u32_e32 v13, 0x3f1, v11
	v_or_b32_e32 v7, 0x1000, v0
	v_med3_i32 v13, v13, 0, 13
	v_lshrrev_b32_e32 v16, v13, v7
	v_mul_f16_sdwa v8, v112, v8 dst_sel:DWORD dst_unused:UNUSED_PAD src0_sel:WORD_1 src1_sel:DWORD
	v_lshlrev_b32_e32 v13, v13, v16
	v_fma_f16 v8, v112, v9, -v8
	v_cmp_ne_u32_e32 vcc, v13, v7
	v_cvt_f32_f16_e32 v8, v8
	v_cndmask_b32_e64 v7, 0, 1, vcc
	v_add_u32_e32 v11, 0xfffffc10, v11
	v_or_b32_e32 v7, v16, v7
	v_lshl_or_b32 v13, v11, 12, v0
	v_cmp_gt_i32_e32 vcc, 1, v11
	v_cndmask_b32_e32 v7, v13, v7, vcc
	v_and_b32_e32 v13, 7, v7
	v_lshrrev_b32_e32 v9, 2, v7
	v_cvt_f64_f32_e32 v[7:8], v8
	v_cmp_lt_i32_e32 vcc, 5, v13
	v_cmp_eq_u32_e64 s[0:1], 3, v13
	s_or_b64 vcc, s[0:1], vcc
	v_mul_f64 v[7:8], v[7:8], s[2:3]
	v_addc_co_u32_e32 v9, vcc, 0, v9, vcc
	v_cmp_gt_i32_e32 vcc, 31, v11
	v_cndmask_b32_e32 v9, v15, v9, vcc
	v_cmp_ne_u32_e32 vcc, 0, v0
	v_cndmask_b32_e64 v0, 0, 1, vcc
	v_lshl_or_b32 v0, v0, 9, v15
	v_cmp_eq_u32_e32 vcc, s10, v11
	v_cndmask_b32_e32 v0, v9, v0, vcc
	v_lshrrev_b32_e32 v1, 16, v1
	v_and_or_b32 v9, v1, s11, v0
	v_and_or_b32 v0, v8, s6, v7
	v_cmp_ne_u32_e32 vcc, 0, v0
	v_cndmask_b32_e64 v0, 0, 1, vcc
	v_lshrrev_b32_e32 v1, 8, v8
	v_bfe_u32 v7, v8, 20, 11
	v_and_or_b32 v0, v1, s7, v0
	v_sub_u32_e32 v11, 0x3f1, v7
	v_or_b32_e32 v1, 0x1000, v0
	v_med3_i32 v11, v11, 0, 13
	v_lshrrev_b32_e32 v13, v11, v1
	v_lshlrev_b32_e32 v11, v11, v13
	v_cmp_ne_u32_e32 vcc, v11, v1
	v_cndmask_b32_e64 v1, 0, 1, vcc
	v_add_u32_e32 v7, 0xfffffc10, v7
	v_or_b32_e32 v1, v13, v1
	v_lshl_or_b32 v11, v7, 12, v0
	v_cmp_gt_i32_e32 vcc, 1, v7
	v_cndmask_b32_e32 v1, v11, v1, vcc
	v_and_b32_e32 v11, 7, v1
	v_cmp_lt_i32_e32 vcc, 5, v11
	v_cmp_eq_u32_e64 s[0:1], 3, v11
	v_lshrrev_b32_e32 v11, 16, v2
	v_lshrrev_b32_e32 v1, 2, v1
	s_or_b64 vcc, s[0:1], vcc
	v_mul_f16_sdwa v13, v111, v11 dst_sel:DWORD dst_unused:UNUSED_PAD src0_sel:WORD_1 src1_sel:DWORD
	v_addc_co_u32_e32 v1, vcc, 0, v1, vcc
	v_fma_f16 v13, v111, v2, v13
	v_cmp_gt_i32_e32 vcc, 31, v7
	v_cvt_f32_f16_e32 v13, v13
	v_cndmask_b32_e32 v1, v15, v1, vcc
	v_cmp_ne_u32_e32 vcc, 0, v0
	v_cndmask_b32_e64 v0, 0, 1, vcc
	v_lshl_or_b32 v0, v0, 9, v15
	v_cmp_eq_u32_e32 vcc, s10, v7
	v_cndmask_b32_e32 v7, v1, v0, vcc
	v_cvt_f64_f32_e32 v[0:1], v13
	v_lshrrev_b32_e32 v8, 16, v8
	v_and_or_b32 v7, v8, s11, v7
	v_and_b32_e32 v8, 0xffff, v9
	v_mul_f64 v[0:1], v[0:1], s[2:3]
	v_lshl_or_b32 v7, v7, 16, v8
	v_mov_b32_e32 v8, s4
	v_add_co_u32_e32 v5, vcc, s5, v5
	v_addc_co_u32_e32 v6, vcc, v6, v8, vcc
	global_store_dword v[5:6], v7, off
	v_and_or_b32 v0, v1, s6, v0
	v_cmp_ne_u32_e32 vcc, 0, v0
	v_cndmask_b32_e64 v0, 0, 1, vcc
	v_lshrrev_b32_e32 v7, 8, v1
	v_bfe_u32 v8, v1, 20, 11
	v_and_or_b32 v0, v7, s7, v0
	v_sub_u32_e32 v9, 0x3f1, v8
	v_or_b32_e32 v7, 0x1000, v0
	v_med3_i32 v9, v9, 0, 13
	v_lshrrev_b32_e32 v13, v9, v7
	v_lshlrev_b32_e32 v9, v9, v13
	v_mul_f16_sdwa v2, v111, v2 dst_sel:DWORD dst_unused:UNUSED_PAD src0_sel:WORD_1 src1_sel:DWORD
	v_cmp_ne_u32_e32 vcc, v9, v7
	v_fma_f16 v2, v111, v11, -v2
	v_cndmask_b32_e64 v7, 0, 1, vcc
	v_add_u32_e32 v9, 0xfffffc10, v8
	v_cvt_f32_f16_e32 v2, v2
	v_or_b32_e32 v7, v13, v7
	v_lshl_or_b32 v8, v9, 12, v0
	v_cmp_gt_i32_e32 vcc, 1, v9
	v_cndmask_b32_e32 v7, v8, v7, vcc
	v_and_b32_e32 v8, 7, v7
	v_cmp_lt_i32_e32 vcc, 5, v8
	v_cmp_eq_u32_e64 s[0:1], 3, v8
	v_lshrrev_b32_e32 v11, 2, v7
	v_cvt_f64_f32_e32 v[7:8], v2
	s_or_b64 vcc, s[0:1], vcc
	v_addc_co_u32_e32 v2, vcc, 0, v11, vcc
	v_mul_f64 v[7:8], v[7:8], s[2:3]
	v_cmp_gt_i32_e32 vcc, 31, v9
	v_cndmask_b32_e32 v2, v15, v2, vcc
	v_cmp_ne_u32_e32 vcc, 0, v0
	v_cndmask_b32_e64 v0, 0, 1, vcc
	v_lshl_or_b32 v0, v0, 9, v15
	v_cmp_eq_u32_e32 vcc, s10, v9
	v_cndmask_b32_e32 v0, v2, v0, vcc
	v_lshrrev_b32_e32 v1, 16, v1
	v_and_or_b32 v2, v1, s11, v0
	v_and_or_b32 v0, v8, s6, v7
	v_cmp_ne_u32_e32 vcc, 0, v0
	v_cndmask_b32_e64 v0, 0, 1, vcc
	v_lshrrev_b32_e32 v1, 8, v8
	v_bfe_u32 v7, v8, 20, 11
	v_and_or_b32 v0, v1, s7, v0
	v_sub_u32_e32 v9, 0x3f1, v7
	v_or_b32_e32 v1, 0x1000, v0
	v_med3_i32 v9, v9, 0, 13
	v_lshrrev_b32_e32 v11, v9, v1
	v_lshlrev_b32_e32 v9, v9, v11
	v_cmp_ne_u32_e32 vcc, v9, v1
	v_cndmask_b32_e64 v1, 0, 1, vcc
	v_add_u32_e32 v7, 0xfffffc10, v7
	v_or_b32_e32 v1, v11, v1
	v_lshl_or_b32 v9, v7, 12, v0
	v_cmp_gt_i32_e32 vcc, 1, v7
	v_cndmask_b32_e32 v1, v9, v1, vcc
	v_and_b32_e32 v9, 7, v1
	v_cmp_lt_i32_e32 vcc, 5, v9
	v_cmp_eq_u32_e64 s[0:1], 3, v9
	v_lshrrev_b32_e32 v9, 16, v10
	v_lshrrev_b32_e32 v1, 2, v1
	s_or_b64 vcc, s[0:1], vcc
	v_mul_f16_sdwa v11, v110, v9 dst_sel:DWORD dst_unused:UNUSED_PAD src0_sel:WORD_1 src1_sel:DWORD
	v_addc_co_u32_e32 v1, vcc, 0, v1, vcc
	v_fma_f16 v11, v110, v10, v11
	v_cmp_gt_i32_e32 vcc, 31, v7
	v_cvt_f32_f16_e32 v11, v11
	v_cndmask_b32_e32 v1, v15, v1, vcc
	v_cmp_ne_u32_e32 vcc, 0, v0
	v_cndmask_b32_e64 v0, 0, 1, vcc
	v_lshl_or_b32 v0, v0, 9, v15
	v_cmp_eq_u32_e32 vcc, s10, v7
	v_cndmask_b32_e32 v7, v1, v0, vcc
	v_cvt_f64_f32_e32 v[0:1], v11
	v_lshrrev_b32_e32 v8, 16, v8
	v_and_or_b32 v7, v8, s11, v7
	v_and_b32_e32 v2, 0xffff, v2
	v_mul_f64 v[0:1], v[0:1], s[2:3]
	v_lshl_or_b32 v2, v7, 16, v2
	v_mov_b32_e32 v7, s4
	v_add_co_u32_e32 v5, vcc, s5, v5
	v_addc_co_u32_e32 v6, vcc, v6, v7, vcc
	global_store_dword v[5:6], v2, off
	v_and_or_b32 v0, v1, s6, v0
	v_cmp_ne_u32_e32 vcc, 0, v0
	v_cndmask_b32_e64 v0, 0, 1, vcc
	v_lshrrev_b32_e32 v2, 8, v1
	v_bfe_u32 v7, v1, 20, 11
	v_and_or_b32 v0, v2, s7, v0
	v_sub_u32_e32 v8, 0x3f1, v7
	v_or_b32_e32 v2, 0x1000, v0
	v_med3_i32 v8, v8, 0, 13
	v_lshrrev_b32_e32 v11, v8, v2
	v_lshlrev_b32_e32 v8, v8, v11
	v_cmp_ne_u32_e32 vcc, v8, v2
	v_mul_f16_sdwa v8, v110, v10 dst_sel:DWORD dst_unused:UNUSED_PAD src0_sel:WORD_1 src1_sel:DWORD
	v_cndmask_b32_e64 v2, 0, 1, vcc
	v_fma_f16 v8, v110, v9, -v8
	v_or_b32_e32 v2, v11, v2
	v_add_u32_e32 v11, 0xfffffc10, v7
	v_cvt_f32_f16_e32 v8, v8
	v_lshl_or_b32 v7, v11, 12, v0
	v_cmp_gt_i32_e32 vcc, 1, v11
	v_cndmask_b32_e32 v2, v7, v2, vcc
	v_and_b32_e32 v7, 7, v2
	v_cmp_lt_i32_e32 vcc, 5, v7
	v_cmp_eq_u32_e64 s[0:1], 3, v7
	v_cvt_f64_f32_e32 v[7:8], v8
	v_lshrrev_b32_e32 v2, 2, v2
	s_or_b64 vcc, s[0:1], vcc
	v_addc_co_u32_e32 v2, vcc, 0, v2, vcc
	v_mul_f64 v[7:8], v[7:8], s[2:3]
	v_cmp_gt_i32_e32 vcc, 31, v11
	v_cndmask_b32_e32 v2, v15, v2, vcc
	v_cmp_ne_u32_e32 vcc, 0, v0
	v_cndmask_b32_e64 v0, 0, 1, vcc
	v_lshl_or_b32 v0, v0, 9, v15
	v_cmp_eq_u32_e32 vcc, s10, v11
	v_cndmask_b32_e32 v0, v2, v0, vcc
	v_lshrrev_b32_e32 v1, 16, v1
	v_and_or_b32 v2, v1, s11, v0
	v_and_or_b32 v0, v8, s6, v7
	v_cmp_ne_u32_e32 vcc, 0, v0
	v_cndmask_b32_e64 v0, 0, 1, vcc
	v_lshrrev_b32_e32 v1, 8, v8
	v_bfe_u32 v7, v8, 20, 11
	v_and_or_b32 v0, v1, s7, v0
	v_sub_u32_e32 v9, 0x3f1, v7
	v_or_b32_e32 v1, 0x1000, v0
	v_med3_i32 v9, v9, 0, 13
	v_lshrrev_b32_e32 v10, v9, v1
	v_lshlrev_b32_e32 v9, v9, v10
	v_cmp_ne_u32_e32 vcc, v9, v1
	v_cndmask_b32_e64 v1, 0, 1, vcc
	v_add_u32_e32 v7, 0xfffffc10, v7
	v_or_b32_e32 v1, v10, v1
	v_lshl_or_b32 v9, v7, 12, v0
	v_cmp_gt_i32_e32 vcc, 1, v7
	v_cndmask_b32_e32 v1, v9, v1, vcc
	v_and_b32_e32 v9, 7, v1
	v_cmp_lt_i32_e32 vcc, 5, v9
	v_cmp_eq_u32_e64 s[0:1], 3, v9
	v_lshrrev_b32_e32 v9, 16, v3
	v_lshrrev_b32_e32 v1, 2, v1
	s_or_b64 vcc, s[0:1], vcc
	v_mul_f16_sdwa v10, v109, v9 dst_sel:DWORD dst_unused:UNUSED_PAD src0_sel:WORD_1 src1_sel:DWORD
	v_addc_co_u32_e32 v1, vcc, 0, v1, vcc
	v_fma_f16 v10, v109, v3, v10
	v_cmp_gt_i32_e32 vcc, 31, v7
	v_cvt_f32_f16_e32 v10, v10
	v_cndmask_b32_e32 v1, v15, v1, vcc
	v_cmp_ne_u32_e32 vcc, 0, v0
	v_cndmask_b32_e64 v0, 0, 1, vcc
	v_lshl_or_b32 v0, v0, 9, v15
	v_cmp_eq_u32_e32 vcc, s10, v7
	v_cndmask_b32_e32 v7, v1, v0, vcc
	v_cvt_f64_f32_e32 v[0:1], v10
	v_lshrrev_b32_e32 v8, 16, v8
	v_and_or_b32 v7, v8, s11, v7
	v_and_b32_e32 v2, 0xffff, v2
	v_mul_f64 v[0:1], v[0:1], s[2:3]
	v_lshl_or_b32 v2, v7, 16, v2
	v_mov_b32_e32 v7, s4
	v_add_co_u32_e32 v5, vcc, s5, v5
	v_addc_co_u32_e32 v6, vcc, v6, v7, vcc
	global_store_dword v[5:6], v2, off
	v_and_or_b32 v0, v1, s6, v0
	v_cmp_ne_u32_e32 vcc, 0, v0
	v_cndmask_b32_e64 v0, 0, 1, vcc
	v_lshrrev_b32_e32 v2, 8, v1
	v_bfe_u32 v7, v1, 20, 11
	v_and_or_b32 v0, v2, s7, v0
	v_sub_u32_e32 v8, 0x3f1, v7
	v_or_b32_e32 v2, 0x1000, v0
	v_med3_i32 v8, v8, 0, 13
	v_lshrrev_b32_e32 v10, v8, v2
	v_lshlrev_b32_e32 v8, v8, v10
	v_mul_f16_sdwa v3, v109, v3 dst_sel:DWORD dst_unused:UNUSED_PAD src0_sel:WORD_1 src1_sel:DWORD
	v_cmp_ne_u32_e32 vcc, v8, v2
	v_fma_f16 v3, v109, v9, -v3
	v_cndmask_b32_e64 v2, 0, 1, vcc
	v_add_u32_e32 v7, 0xfffffc10, v7
	v_cvt_f32_f16_e32 v3, v3
	v_or_b32_e32 v2, v10, v2
	v_lshl_or_b32 v8, v7, 12, v0
	v_cmp_gt_i32_e32 vcc, 1, v7
	v_cndmask_b32_e32 v2, v8, v2, vcc
	v_and_b32_e32 v8, 7, v2
	v_cmp_lt_i32_e32 vcc, 5, v8
	v_cmp_eq_u32_e64 s[0:1], 3, v8
	v_lshrrev_b32_e32 v8, 2, v2
	v_cvt_f64_f32_e32 v[2:3], v3
	s_or_b64 vcc, s[0:1], vcc
	v_addc_co_u32_e32 v8, vcc, 0, v8, vcc
	v_mul_f64 v[2:3], v[2:3], s[2:3]
	v_cmp_gt_i32_e32 vcc, 31, v7
	v_cndmask_b32_e32 v8, v15, v8, vcc
	v_cmp_ne_u32_e32 vcc, 0, v0
	v_cndmask_b32_e64 v0, 0, 1, vcc
	v_lshl_or_b32 v0, v0, 9, v15
	v_cmp_eq_u32_e32 vcc, s10, v7
	v_cndmask_b32_e32 v0, v8, v0, vcc
	v_lshrrev_b32_e32 v1, 16, v1
	v_and_or_b32 v7, v1, s11, v0
	v_and_or_b32 v0, v3, s6, v2
	v_cmp_ne_u32_e32 vcc, 0, v0
	v_cndmask_b32_e64 v0, 0, 1, vcc
	v_lshrrev_b32_e32 v1, 8, v3
	v_bfe_u32 v2, v3, 20, 11
	v_and_or_b32 v0, v1, s7, v0
	v_sub_u32_e32 v8, 0x3f1, v2
	v_or_b32_e32 v1, 0x1000, v0
	v_med3_i32 v8, v8, 0, 13
	v_lshrrev_b32_e32 v9, v8, v1
	v_lshlrev_b32_e32 v8, v8, v9
	v_cmp_ne_u32_e32 vcc, v8, v1
	v_cndmask_b32_e64 v1, 0, 1, vcc
	v_add_u32_e32 v2, 0xfffffc10, v2
	v_or_b32_e32 v1, v9, v1
	v_lshl_or_b32 v8, v2, 12, v0
	v_cmp_gt_i32_e32 vcc, 1, v2
	v_cndmask_b32_e32 v1, v8, v1, vcc
	v_and_b32_e32 v8, 7, v1
	v_cmp_lt_i32_e32 vcc, 5, v8
	v_cmp_eq_u32_e64 s[0:1], 3, v8
	v_lshrrev_b32_e32 v8, 16, v12
	v_lshrrev_b32_e32 v1, 2, v1
	s_or_b64 vcc, s[0:1], vcc
	v_mul_f16_sdwa v9, v108, v8 dst_sel:DWORD dst_unused:UNUSED_PAD src0_sel:WORD_1 src1_sel:DWORD
	v_addc_co_u32_e32 v1, vcc, 0, v1, vcc
	v_fma_f16 v9, v108, v12, v9
	v_cmp_gt_i32_e32 vcc, 31, v2
	v_cvt_f32_f16_e32 v9, v9
	v_cndmask_b32_e32 v1, v15, v1, vcc
	v_cmp_ne_u32_e32 vcc, 0, v0
	v_cndmask_b32_e64 v0, 0, 1, vcc
	v_lshl_or_b32 v0, v0, 9, v15
	v_cmp_eq_u32_e32 vcc, s10, v2
	v_cndmask_b32_e32 v2, v1, v0, vcc
	v_cvt_f64_f32_e32 v[0:1], v9
	v_lshrrev_b32_e32 v3, 16, v3
	v_and_or_b32 v2, v3, s11, v2
	v_and_b32_e32 v3, 0xffff, v7
	v_mul_f64 v[0:1], v[0:1], s[2:3]
	v_lshl_or_b32 v7, v2, 16, v3
	v_mov_b32_e32 v3, s4
	v_add_co_u32_e32 v2, vcc, s5, v5
	v_addc_co_u32_e32 v3, vcc, v6, v3, vcc
	global_store_dword v[2:3], v7, off
	v_and_or_b32 v0, v1, s6, v0
	v_cmp_ne_u32_e32 vcc, 0, v0
	v_cndmask_b32_e64 v0, 0, 1, vcc
	v_lshrrev_b32_e32 v5, 8, v1
	v_bfe_u32 v6, v1, 20, 11
	v_and_or_b32 v0, v5, s7, v0
	v_sub_u32_e32 v7, 0x3f1, v6
	v_or_b32_e32 v5, 0x1000, v0
	v_med3_i32 v7, v7, 0, 13
	v_lshrrev_b32_e32 v9, v7, v5
	v_lshlrev_b32_e32 v7, v7, v9
	v_cmp_ne_u32_e32 vcc, v7, v5
	v_cndmask_b32_e64 v5, 0, 1, vcc
	v_or_b32_e32 v5, v9, v5
	v_mul_f16_sdwa v9, v108, v12 dst_sel:DWORD dst_unused:UNUSED_PAD src0_sel:WORD_1 src1_sel:DWORD
	v_fma_f16 v8, v108, v8, -v9
	v_add_u32_e32 v7, 0xfffffc10, v6
	v_cvt_f32_f16_e32 v8, v8
	v_lshl_or_b32 v6, v7, 12, v0
	v_cmp_gt_i32_e32 vcc, 1, v7
	v_cndmask_b32_e32 v5, v6, v5, vcc
	v_and_b32_e32 v6, 7, v5
	v_cmp_lt_i32_e32 vcc, 5, v6
	v_cmp_eq_u32_e64 s[0:1], 3, v6
	v_lshrrev_b32_e32 v9, 2, v5
	v_cvt_f64_f32_e32 v[5:6], v8
	s_or_b64 vcc, s[0:1], vcc
	v_addc_co_u32_e32 v8, vcc, 0, v9, vcc
	v_mul_f64 v[5:6], v[5:6], s[2:3]
	v_cmp_gt_i32_e32 vcc, 31, v7
	v_cndmask_b32_e32 v8, v15, v8, vcc
	v_cmp_ne_u32_e32 vcc, 0, v0
	v_cndmask_b32_e64 v0, 0, 1, vcc
	v_lshl_or_b32 v0, v0, 9, v15
	v_cmp_eq_u32_e32 vcc, s10, v7
	v_cndmask_b32_e32 v0, v8, v0, vcc
	v_lshrrev_b32_e32 v1, 16, v1
	v_and_or_b32 v7, v1, s11, v0
	v_and_or_b32 v0, v6, s6, v5
	v_cmp_ne_u32_e32 vcc, 0, v0
	v_cndmask_b32_e64 v0, 0, 1, vcc
	v_lshrrev_b32_e32 v1, 8, v6
	v_bfe_u32 v5, v6, 20, 11
	v_and_or_b32 v0, v1, s7, v0
	v_sub_u32_e32 v8, 0x3f1, v5
	v_or_b32_e32 v1, 0x1000, v0
	v_med3_i32 v8, v8, 0, 13
	v_lshrrev_b32_e32 v9, v8, v1
	v_lshlrev_b32_e32 v8, v8, v9
	v_cmp_ne_u32_e32 vcc, v8, v1
	v_cndmask_b32_e64 v1, 0, 1, vcc
	v_add_u32_e32 v5, 0xfffffc10, v5
	v_or_b32_e32 v1, v9, v1
	v_lshl_or_b32 v8, v5, 12, v0
	v_cmp_gt_i32_e32 vcc, 1, v5
	v_cndmask_b32_e32 v1, v8, v1, vcc
	v_and_b32_e32 v8, 7, v1
	v_cmp_lt_i32_e32 vcc, 5, v8
	v_cmp_eq_u32_e64 s[0:1], 3, v8
	v_lshrrev_b32_e32 v8, 16, v4
	v_lshrrev_b32_e32 v1, 2, v1
	s_or_b64 vcc, s[0:1], vcc
	v_mul_f16_sdwa v9, v107, v8 dst_sel:DWORD dst_unused:UNUSED_PAD src0_sel:WORD_1 src1_sel:DWORD
	v_addc_co_u32_e32 v1, vcc, 0, v1, vcc
	v_fma_f16 v9, v107, v4, v9
	v_cmp_gt_i32_e32 vcc, 31, v5
	v_cvt_f32_f16_e32 v9, v9
	v_cndmask_b32_e32 v1, v15, v1, vcc
	v_cmp_ne_u32_e32 vcc, 0, v0
	v_cndmask_b32_e64 v0, 0, 1, vcc
	v_lshl_or_b32 v0, v0, 9, v15
	v_cmp_eq_u32_e32 vcc, s10, v5
	v_cndmask_b32_e32 v5, v1, v0, vcc
	v_cvt_f64_f32_e32 v[0:1], v9
	v_lshrrev_b32_e32 v6, 16, v6
	v_and_or_b32 v5, v6, s11, v5
	v_and_b32_e32 v6, 0xffff, v7
	v_mul_f64 v[0:1], v[0:1], s[2:3]
	v_lshl_or_b32 v5, v5, 16, v6
	v_mov_b32_e32 v6, s4
	v_add_co_u32_e32 v2, vcc, s5, v2
	v_addc_co_u32_e32 v3, vcc, v3, v6, vcc
	global_store_dword v[2:3], v5, off
	v_and_or_b32 v0, v1, s6, v0
	v_cmp_ne_u32_e32 vcc, 0, v0
	v_cndmask_b32_e64 v0, 0, 1, vcc
	v_lshrrev_b32_e32 v5, 8, v1
	v_bfe_u32 v6, v1, 20, 11
	v_and_or_b32 v0, v5, s7, v0
	v_sub_u32_e32 v7, 0x3f1, v6
	v_or_b32_e32 v5, 0x1000, v0
	v_med3_i32 v7, v7, 0, 13
	v_lshrrev_b32_e32 v9, v7, v5
	v_lshlrev_b32_e32 v7, v7, v9
	v_mul_f16_sdwa v4, v107, v4 dst_sel:DWORD dst_unused:UNUSED_PAD src0_sel:WORD_1 src1_sel:DWORD
	v_cmp_ne_u32_e32 vcc, v7, v5
	v_fma_f16 v4, v107, v8, -v4
	v_cndmask_b32_e64 v5, 0, 1, vcc
	v_add_u32_e32 v6, 0xfffffc10, v6
	v_cvt_f32_f16_e32 v4, v4
	v_or_b32_e32 v5, v9, v5
	v_lshl_or_b32 v7, v6, 12, v0
	v_cmp_gt_i32_e32 vcc, 1, v6
	v_cndmask_b32_e32 v5, v7, v5, vcc
	v_and_b32_e32 v7, 7, v5
	v_cmp_lt_i32_e32 vcc, 5, v7
	v_cmp_eq_u32_e64 s[0:1], 3, v7
	v_lshrrev_b32_e32 v7, 2, v5
	v_cvt_f64_f32_e32 v[4:5], v4
	s_or_b64 vcc, s[0:1], vcc
	v_addc_co_u32_e32 v7, vcc, 0, v7, vcc
	v_mul_f64 v[4:5], v[4:5], s[2:3]
	v_cmp_gt_i32_e32 vcc, 31, v6
	v_cndmask_b32_e32 v7, v15, v7, vcc
	v_cmp_ne_u32_e32 vcc, 0, v0
	v_cndmask_b32_e64 v0, 0, 1, vcc
	v_lshl_or_b32 v0, v0, 9, v15
	v_cmp_eq_u32_e32 vcc, s10, v6
	v_cndmask_b32_e32 v0, v7, v0, vcc
	v_lshrrev_b32_e32 v1, 16, v1
	v_and_or_b32 v6, v1, s11, v0
	v_and_or_b32 v0, v5, s6, v4
	v_cmp_ne_u32_e32 vcc, 0, v0
	v_cndmask_b32_e64 v0, 0, 1, vcc
	v_lshrrev_b32_e32 v1, 8, v5
	v_bfe_u32 v4, v5, 20, 11
	v_and_or_b32 v0, v1, s7, v0
	v_sub_u32_e32 v7, 0x3f1, v4
	v_or_b32_e32 v1, 0x1000, v0
	v_med3_i32 v7, v7, 0, 13
	v_lshrrev_b32_e32 v8, v7, v1
	v_lshlrev_b32_e32 v7, v7, v8
	v_cmp_ne_u32_e32 vcc, v7, v1
	v_cndmask_b32_e64 v1, 0, 1, vcc
	v_add_u32_e32 v4, 0xfffffc10, v4
	v_or_b32_e32 v1, v8, v1
	v_lshl_or_b32 v7, v4, 12, v0
	v_cmp_gt_i32_e32 vcc, 1, v4
	v_cndmask_b32_e32 v1, v7, v1, vcc
	v_and_b32_e32 v7, 7, v1
	v_cmp_lt_i32_e32 vcc, 5, v7
	v_cmp_eq_u32_e64 s[0:1], 3, v7
	v_lshrrev_b32_e32 v7, 16, v14
	v_lshrrev_b32_e32 v1, 2, v1
	s_or_b64 vcc, s[0:1], vcc
	v_mul_f16_sdwa v8, v106, v7 dst_sel:DWORD dst_unused:UNUSED_PAD src0_sel:WORD_1 src1_sel:DWORD
	v_addc_co_u32_e32 v1, vcc, 0, v1, vcc
	v_fma_f16 v8, v106, v14, v8
	v_cmp_gt_i32_e32 vcc, 31, v4
	v_cvt_f32_f16_e32 v8, v8
	v_cndmask_b32_e32 v1, v15, v1, vcc
	v_cmp_ne_u32_e32 vcc, 0, v0
	v_cndmask_b32_e64 v0, 0, 1, vcc
	v_lshl_or_b32 v0, v0, 9, v15
	v_cmp_eq_u32_e32 vcc, s10, v4
	v_cndmask_b32_e32 v4, v1, v0, vcc
	v_cvt_f64_f32_e32 v[0:1], v8
	v_lshrrev_b32_e32 v5, 16, v5
	v_and_or_b32 v4, v5, s11, v4
	v_and_b32_e32 v5, 0xffff, v6
	v_mul_f64 v[0:1], v[0:1], s[2:3]
	v_lshl_or_b32 v4, v4, 16, v5
	v_mov_b32_e32 v5, s4
	v_add_co_u32_e32 v2, vcc, s5, v2
	v_addc_co_u32_e32 v3, vcc, v3, v5, vcc
	global_store_dword v[2:3], v4, off
	v_and_or_b32 v0, v1, s6, v0
	v_cmp_ne_u32_e32 vcc, 0, v0
	v_cndmask_b32_e64 v0, 0, 1, vcc
	v_lshrrev_b32_e32 v4, 8, v1
	v_bfe_u32 v5, v1, 20, 11
	v_and_or_b32 v0, v4, s7, v0
	v_sub_u32_e32 v6, 0x3f1, v5
	v_or_b32_e32 v4, 0x1000, v0
	v_med3_i32 v6, v6, 0, 13
	v_lshrrev_b32_e32 v8, v6, v4
	v_lshlrev_b32_e32 v6, v6, v8
	v_cmp_ne_u32_e32 vcc, v6, v4
	v_cndmask_b32_e64 v4, 0, 1, vcc
	v_or_b32_e32 v4, v8, v4
	v_mul_f16_sdwa v8, v106, v14 dst_sel:DWORD dst_unused:UNUSED_PAD src0_sel:WORD_1 src1_sel:DWORD
	v_fma_f16 v7, v106, v7, -v8
	v_add_u32_e32 v6, 0xfffffc10, v5
	v_cvt_f32_f16_e32 v7, v7
	v_lshl_or_b32 v5, v6, 12, v0
	v_cmp_gt_i32_e32 vcc, 1, v6
	v_cndmask_b32_e32 v4, v5, v4, vcc
	v_and_b32_e32 v5, 7, v4
	v_cmp_lt_i32_e32 vcc, 5, v5
	v_cmp_eq_u32_e64 s[0:1], 3, v5
	v_lshrrev_b32_e32 v8, 2, v4
	v_cvt_f64_f32_e32 v[4:5], v7
	s_or_b64 vcc, s[0:1], vcc
	v_addc_co_u32_e32 v7, vcc, 0, v8, vcc
	v_mul_f64 v[4:5], v[4:5], s[2:3]
	v_cmp_gt_i32_e32 vcc, 31, v6
	v_cndmask_b32_e32 v7, v15, v7, vcc
	v_cmp_ne_u32_e32 vcc, 0, v0
	v_cndmask_b32_e64 v0, 0, 1, vcc
	v_lshl_or_b32 v0, v0, 9, v15
	v_cmp_eq_u32_e32 vcc, s10, v6
	v_cndmask_b32_e32 v0, v7, v0, vcc
	v_lshrrev_b32_e32 v1, 16, v1
	v_and_or_b32 v0, v1, s11, v0
	v_and_or_b32 v1, v5, s6, v4
	v_cmp_ne_u32_e32 vcc, 0, v1
	v_cndmask_b32_e64 v1, 0, 1, vcc
	v_lshrrev_b32_e32 v4, 8, v5
	v_bfe_u32 v6, v5, 20, 11
	v_and_or_b32 v1, v4, s7, v1
	v_sub_u32_e32 v7, 0x3f1, v6
	v_or_b32_e32 v4, 0x1000, v1
	v_med3_i32 v7, v7, 0, 13
	v_lshrrev_b32_e32 v8, v7, v4
	v_lshlrev_b32_e32 v7, v7, v8
	v_cmp_ne_u32_e32 vcc, v7, v4
	v_cndmask_b32_e64 v4, 0, 1, vcc
	v_add_u32_e32 v6, 0xfffffc10, v6
	v_or_b32_e32 v4, v8, v4
	v_lshl_or_b32 v7, v6, 12, v1
	v_cmp_gt_i32_e32 vcc, 1, v6
	v_cndmask_b32_e32 v4, v7, v4, vcc
	v_and_b32_e32 v7, 7, v4
	v_cmp_lt_i32_e32 vcc, 5, v7
	v_cmp_eq_u32_e64 s[0:1], 3, v7
	v_lshrrev_b32_e32 v4, 2, v4
	s_or_b64 vcc, s[0:1], vcc
	v_addc_co_u32_e32 v4, vcc, 0, v4, vcc
	v_cmp_gt_i32_e32 vcc, 31, v6
	v_cndmask_b32_e32 v4, v15, v4, vcc
	v_cmp_ne_u32_e32 vcc, 0, v1
	v_cndmask_b32_e64 v1, 0, 1, vcc
	v_lshl_or_b32 v1, v1, 9, v15
	v_cmp_eq_u32_e32 vcc, s10, v6
	v_cndmask_b32_e32 v1, v4, v1, vcc
	v_lshrrev_b32_e32 v4, 16, v5
	v_and_or_b32 v1, v4, s11, v1
	v_and_b32_e32 v0, 0xffff, v0
	v_lshl_or_b32 v4, v1, 16, v0
	v_mov_b32_e32 v1, s4
	v_add_co_u32_e32 v0, vcc, s5, v2
	v_addc_co_u32_e32 v1, vcc, v3, v1, vcc
	global_store_dword v[0:1], v4, off
.LBB0_2:
	s_endpgm
	.section	.rodata,"a",@progbits
	.p2align	6, 0x0
	.amdhsa_kernel bluestein_single_fwd_len2430_dim1_half_op_CI_CI
		.amdhsa_group_segment_fixed_size 9720
		.amdhsa_private_segment_fixed_size 0
		.amdhsa_kernarg_size 104
		.amdhsa_user_sgpr_count 6
		.amdhsa_user_sgpr_private_segment_buffer 1
		.amdhsa_user_sgpr_dispatch_ptr 0
		.amdhsa_user_sgpr_queue_ptr 0
		.amdhsa_user_sgpr_kernarg_segment_ptr 1
		.amdhsa_user_sgpr_dispatch_id 0
		.amdhsa_user_sgpr_flat_scratch_init 0
		.amdhsa_user_sgpr_private_segment_size 0
		.amdhsa_uses_dynamic_stack 0
		.amdhsa_system_sgpr_private_segment_wavefront_offset 0
		.amdhsa_system_sgpr_workgroup_id_x 1
		.amdhsa_system_sgpr_workgroup_id_y 0
		.amdhsa_system_sgpr_workgroup_id_z 0
		.amdhsa_system_sgpr_workgroup_info 0
		.amdhsa_system_vgpr_workitem_id 0
		.amdhsa_next_free_vgpr 248
		.amdhsa_next_free_sgpr 24
		.amdhsa_reserve_vcc 1
		.amdhsa_reserve_flat_scratch 0
		.amdhsa_float_round_mode_32 0
		.amdhsa_float_round_mode_16_64 0
		.amdhsa_float_denorm_mode_32 3
		.amdhsa_float_denorm_mode_16_64 3
		.amdhsa_dx10_clamp 1
		.amdhsa_ieee_mode 1
		.amdhsa_fp16_overflow 0
		.amdhsa_exception_fp_ieee_invalid_op 0
		.amdhsa_exception_fp_denorm_src 0
		.amdhsa_exception_fp_ieee_div_zero 0
		.amdhsa_exception_fp_ieee_overflow 0
		.amdhsa_exception_fp_ieee_underflow 0
		.amdhsa_exception_fp_ieee_inexact 0
		.amdhsa_exception_int_div_zero 0
	.end_amdhsa_kernel
	.text
.Lfunc_end0:
	.size	bluestein_single_fwd_len2430_dim1_half_op_CI_CI, .Lfunc_end0-bluestein_single_fwd_len2430_dim1_half_op_CI_CI
                                        ; -- End function
	.section	.AMDGPU.csdata,"",@progbits
; Kernel info:
; codeLenInByte = 49880
; NumSgprs: 28
; NumVgprs: 248
; ScratchSize: 0
; MemoryBound: 0
; FloatMode: 240
; IeeeMode: 1
; LDSByteSize: 9720 bytes/workgroup (compile time only)
; SGPRBlocks: 3
; VGPRBlocks: 61
; NumSGPRsForWavesPerEU: 28
; NumVGPRsForWavesPerEU: 248
; Occupancy: 1
; WaveLimiterHint : 1
; COMPUTE_PGM_RSRC2:SCRATCH_EN: 0
; COMPUTE_PGM_RSRC2:USER_SGPR: 6
; COMPUTE_PGM_RSRC2:TRAP_HANDLER: 0
; COMPUTE_PGM_RSRC2:TGID_X_EN: 1
; COMPUTE_PGM_RSRC2:TGID_Y_EN: 0
; COMPUTE_PGM_RSRC2:TGID_Z_EN: 0
; COMPUTE_PGM_RSRC2:TIDIG_COMP_CNT: 0
	.type	__hip_cuid_13b5231db58c10d8,@object ; @__hip_cuid_13b5231db58c10d8
	.section	.bss,"aw",@nobits
	.globl	__hip_cuid_13b5231db58c10d8
__hip_cuid_13b5231db58c10d8:
	.byte	0                               ; 0x0
	.size	__hip_cuid_13b5231db58c10d8, 1

	.ident	"AMD clang version 19.0.0git (https://github.com/RadeonOpenCompute/llvm-project roc-6.4.0 25133 c7fe45cf4b819c5991fe208aaa96edf142730f1d)"
	.section	".note.GNU-stack","",@progbits
	.addrsig
	.addrsig_sym __hip_cuid_13b5231db58c10d8
	.amdgpu_metadata
---
amdhsa.kernels:
  - .args:
      - .actual_access:  read_only
        .address_space:  global
        .offset:         0
        .size:           8
        .value_kind:     global_buffer
      - .actual_access:  read_only
        .address_space:  global
        .offset:         8
        .size:           8
        .value_kind:     global_buffer
      - .actual_access:  read_only
        .address_space:  global
        .offset:         16
        .size:           8
        .value_kind:     global_buffer
      - .actual_access:  read_only
        .address_space:  global
        .offset:         24
        .size:           8
        .value_kind:     global_buffer
      - .actual_access:  read_only
        .address_space:  global
        .offset:         32
        .size:           8
        .value_kind:     global_buffer
      - .offset:         40
        .size:           8
        .value_kind:     by_value
      - .address_space:  global
        .offset:         48
        .size:           8
        .value_kind:     global_buffer
      - .address_space:  global
        .offset:         56
        .size:           8
        .value_kind:     global_buffer
      - .address_space:  global
        .offset:         64
        .size:           8
        .value_kind:     global_buffer
      - .address_space:  global
        .offset:         72
        .size:           8
        .value_kind:     global_buffer
      - .offset:         80
        .size:           4
        .value_kind:     by_value
      - .address_space:  global
        .offset:         88
        .size:           8
        .value_kind:     global_buffer
      - .address_space:  global
        .offset:         96
        .size:           8
        .value_kind:     global_buffer
    .group_segment_fixed_size: 9720
    .kernarg_segment_align: 8
    .kernarg_segment_size: 104
    .language:       OpenCL C
    .language_version:
      - 2
      - 0
    .max_flat_workgroup_size: 81
    .name:           bluestein_single_fwd_len2430_dim1_half_op_CI_CI
    .private_segment_fixed_size: 0
    .sgpr_count:     28
    .sgpr_spill_count: 0
    .symbol:         bluestein_single_fwd_len2430_dim1_half_op_CI_CI.kd
    .uniform_work_group_size: 1
    .uses_dynamic_stack: false
    .vgpr_count:     248
    .vgpr_spill_count: 0
    .wavefront_size: 64
amdhsa.target:   amdgcn-amd-amdhsa--gfx906
amdhsa.version:
  - 1
  - 2
...

	.end_amdgpu_metadata
